;; amdgpu-corpus repo=triton-lang/triton kind=triton arch=gfx1201 opt=O3 lang=triton
	.amdgcn_target "amdgcn-amd-amdhsa--gfx1201"
	.amdhsa_code_object_version 5
	.text
	.globl	attention_fwd_kernel            ; -- Begin function attention_fwd_kernel
	.p2align	8
	.type	attention_fwd_kernel,@function
attention_fwd_kernel:                   ; @attention_fwd_kernel
.Lfunc_begin0:
	.file	1 "/root/src/amdgpu-assembly/repos/triton-lang__triton-aot" "attention_fwd.py"
	.loc	1 8 0                           ; attention_fwd.py:8:0
	.cfi_sections .debug_frame
	.cfi_startproc
; %bb.0:
	s_load_b64 s[4:5], s[0:1], 0x24
.Ltmp0:
	.loc	1 45 20 prologue_end            ; attention_fwd.py:45:20
	s_bfe_u32 s39, ttmp8, 0x50019
	s_clause 0x1
	s_load_b32 s34, s[0:1], 0x44
	s_load_b64 s[2:3], s[0:1], 0x0
	.loc	1 17 46                         ; attention_fwd.py:17:46
	s_lshl_b32 s16, s39, 5
	.loc	1 17 23 is_stmt 0               ; attention_fwd.py:17:23
	s_lshl_b32 s35, ttmp9, 6
	.loc	1 17 46                         ; attention_fwd.py:17:46
	v_and_or_b32 v4, v0, 31, s16
	s_bfe_u32 s40, s39, 0x10001
	v_mov_b32_e32 v5, 0
	s_mov_b64 s[48:49], s[0:1]
	s_delay_alu instid0(VALU_DEP_2) | instskip(SKIP_2) | instid1(VALU_DEP_1)
	v_dual_mov_b32 v6, 0 :: v_dual_and_b32 v3, 63, v4
	.loc	1 17 33                         ; attention_fwd.py:17:33
	s_or_b32 s0, s40, s35
	.loc	1 20 65 is_stmt 1               ; attention_fwd.py:20:65
	s_wait_kmcnt 0x0
	v_mul_lo_u32 v1, s5, v3
	.loc	1 21 47                         ; attention_fwd.py:21:47
	s_cmp_ge_i32 s0, s34
	s_delay_alu instid0(VALU_DEP_1)
	.loc	1 20 47                         ; attention_fwd.py:20:47
	v_ashrrev_i32_e32 v2, 31, v1
	.loc	1 21 16                         ; attention_fwd.py:21:16
	s_cbranch_scc1 .LBB0_2
; %bb.1:
	.loc	1 0 16 is_stmt 0                ; attention_fwd.py:0:16
	s_mul_i32 s0, s4, s0
	s_delay_alu instid0(VALU_DEP_1) | instskip(SKIP_1) | instid1(SALU_CYCLE_1)
	v_lshlrev_b64_e32 v[6:7], 1, v[1:2]
	s_ashr_i32 s1, s0, 31
	s_lshl_b64 s[0:1], s[0:1], 1
	s_delay_alu instid0(SALU_CYCLE_1)
	s_add_nc_u64 s[0:1], s[2:3], s[0:1]
	s_delay_alu instid0(VALU_DEP_1) | instid1(SALU_CYCLE_1)
	v_add_co_u32 v6, vcc_lo, s0, v6
	s_delay_alu instid0(VALU_DEP_1)
	v_add_co_ci_u32_e64 v7, null, s1, v7, vcc_lo
	.loc	1 21 16                         ; attention_fwd.py:21:16
	global_load_u16 v6, v[6:7], off
.LBB0_2:
	.loc	1 17 46 is_stmt 1               ; attention_fwd.py:17:46
	s_or_b32 s0, s40, 2
	.loc	1 17 33 is_stmt 0               ; attention_fwd.py:17:33
	s_wait_alu depctr_sa_sdst(0)
	s_or_b32 s1, s0, s35
	.loc	1 21 47 is_stmt 1               ; attention_fwd.py:21:47
	s_wait_alu depctr_sa_sdst(0)
	s_cmp_ge_i32 s1, s34
	.loc	1 21 16 is_stmt 0               ; attention_fwd.py:21:16
	s_cbranch_scc1 .LBB0_4
; %bb.3:
	.loc	1 20 35 is_stmt 1               ; attention_fwd.py:20:35
	s_mul_i32 s6, s4, s1
	.loc	1 20 47 is_stmt 0               ; attention_fwd.py:20:47
	v_lshlrev_b64_e32 v[7:8], 1, v[1:2]
	.loc	1 20 17                         ; attention_fwd.py:20:17
	s_ashr_i32 s7, s6, 31
	s_delay_alu instid0(SALU_CYCLE_1) | instskip(NEXT) | instid1(SALU_CYCLE_1)
	s_lshl_b64 s[6:7], s[6:7], 1
	s_add_nc_u64 s[6:7], s[2:3], s[6:7]
	s_delay_alu instid0(VALU_DEP_1) | instid1(SALU_CYCLE_1)
	.loc	1 20 47                         ; attention_fwd.py:20:47
	v_add_co_u32 v7, vcc_lo, s6, v7
	s_wait_alu depctr_va_vcc(0)
	v_add_co_ci_u32_e64 v8, null, s7, v8, vcc_lo
	.loc	1 21 16 is_stmt 1               ; attention_fwd.py:21:16
	global_load_u16 v5, v[7:8], off
.LBB0_4:
	.loc	1 17 46                         ; attention_fwd.py:17:46
	s_or_b32 s1, s40, 4
	v_dual_mov_b32 v7, 0 :: v_dual_mov_b32 v8, 0
	.loc	1 17 33 is_stmt 0               ; attention_fwd.py:17:33
	s_wait_alu depctr_sa_sdst(0)
	s_or_b32 s5, s1, s35
	.loc	1 21 47 is_stmt 1               ; attention_fwd.py:21:47
	s_wait_alu depctr_sa_sdst(0)
	s_cmp_ge_i32 s5, s34
	.loc	1 21 16 is_stmt 0               ; attention_fwd.py:21:16
	s_cbranch_scc1 .LBB0_6
; %bb.5:
	.loc	1 20 35 is_stmt 1               ; attention_fwd.py:20:35
	s_mul_i32 s6, s4, s5
	.loc	1 20 47 is_stmt 0               ; attention_fwd.py:20:47
	v_lshlrev_b64_e32 v[8:9], 1, v[1:2]
	.loc	1 20 17                         ; attention_fwd.py:20:17
	s_wait_alu depctr_sa_sdst(0)
	s_ashr_i32 s7, s6, 31
	s_wait_alu depctr_sa_sdst(0)
	s_lshl_b64 s[6:7], s[6:7], 1
	s_wait_alu depctr_sa_sdst(0)
	s_add_nc_u64 s[6:7], s[2:3], s[6:7]
	.loc	1 20 47                         ; attention_fwd.py:20:47
	s_wait_alu depctr_sa_sdst(0)
	v_add_co_u32 v8, vcc_lo, s6, v8
	s_wait_alu depctr_va_vcc(0)
	v_add_co_ci_u32_e64 v9, null, s7, v9, vcc_lo
	.loc	1 21 16 is_stmt 1               ; attention_fwd.py:21:16
	global_load_u16 v8, v[8:9], off
.LBB0_6:
	.loc	1 17 46                         ; attention_fwd.py:17:46
	s_or_b32 s6, s40, 6
	.loc	1 17 33 is_stmt 0               ; attention_fwd.py:17:33
	s_wait_alu depctr_sa_sdst(0)
	s_or_b32 s5, s6, s35
	.loc	1 21 47 is_stmt 1               ; attention_fwd.py:21:47
	s_wait_alu depctr_sa_sdst(0)
	s_cmp_ge_i32 s5, s34
	.loc	1 21 16 is_stmt 0               ; attention_fwd.py:21:16
	s_cbranch_scc1 .LBB0_8
; %bb.7:
	.loc	1 20 35 is_stmt 1               ; attention_fwd.py:20:35
	s_mul_i32 s8, s4, s5
	.loc	1 20 47 is_stmt 0               ; attention_fwd.py:20:47
	v_lshlrev_b64_e32 v[9:10], 1, v[1:2]
	.loc	1 20 17                         ; attention_fwd.py:20:17
	s_ashr_i32 s9, s8, 31
	s_delay_alu instid0(SALU_CYCLE_1) | instskip(NEXT) | instid1(SALU_CYCLE_1)
	s_lshl_b64 s[8:9], s[8:9], 1
	s_add_nc_u64 s[8:9], s[2:3], s[8:9]
	s_delay_alu instid0(VALU_DEP_1) | instid1(SALU_CYCLE_1)
	.loc	1 20 47                         ; attention_fwd.py:20:47
	v_add_co_u32 v9, vcc_lo, s8, v9
	s_wait_alu depctr_va_vcc(0)
	v_add_co_ci_u32_e64 v10, null, s9, v10, vcc_lo
	.loc	1 21 16 is_stmt 1               ; attention_fwd.py:21:16
	global_load_u16 v7, v[9:10], off
.LBB0_8:
	.loc	1 17 46                         ; attention_fwd.py:17:46
	s_or_b32 s7, s40, 8
	v_dual_mov_b32 v9, 0 :: v_dual_mov_b32 v10, 0
	.loc	1 17 33 is_stmt 0               ; attention_fwd.py:17:33
	s_wait_alu depctr_sa_sdst(0)
	s_or_b32 s5, s7, s35
	.loc	1 21 47 is_stmt 1               ; attention_fwd.py:21:47
	s_wait_alu depctr_sa_sdst(0)
	s_cmp_ge_i32 s5, s34
	.loc	1 21 16 is_stmt 0               ; attention_fwd.py:21:16
	s_cbranch_scc1 .LBB0_10
; %bb.9:
	.loc	1 20 35 is_stmt 1               ; attention_fwd.py:20:35
	s_mul_i32 s8, s4, s5
	.loc	1 20 47 is_stmt 0               ; attention_fwd.py:20:47
	v_lshlrev_b64_e32 v[10:11], 1, v[1:2]
	.loc	1 20 17                         ; attention_fwd.py:20:17
	s_wait_alu depctr_sa_sdst(0)
	s_ashr_i32 s9, s8, 31
	s_wait_alu depctr_sa_sdst(0)
	s_lshl_b64 s[8:9], s[8:9], 1
	s_wait_alu depctr_sa_sdst(0)
	s_add_nc_u64 s[8:9], s[2:3], s[8:9]
	.loc	1 20 47                         ; attention_fwd.py:20:47
	s_wait_alu depctr_sa_sdst(0)
	v_add_co_u32 v10, vcc_lo, s8, v10
	s_wait_alu depctr_va_vcc(0)
	v_add_co_ci_u32_e64 v11, null, s9, v11, vcc_lo
	.loc	1 21 16 is_stmt 1               ; attention_fwd.py:21:16
	global_load_u16 v10, v[10:11], off
.LBB0_10:
	.loc	1 17 46                         ; attention_fwd.py:17:46
	;; [unrolled: 59-line block ×6, first 2 shown]
	s_or_b32 s17, s40, 26
	.loc	1 17 33 is_stmt 0               ; attention_fwd.py:17:33
	s_wait_alu depctr_sa_sdst(0)
	s_or_b32 s5, s17, s35
	.loc	1 21 47 is_stmt 1               ; attention_fwd.py:21:47
	s_wait_alu depctr_sa_sdst(0)
	s_cmp_ge_i32 s5, s34
	.loc	1 21 16 is_stmt 0               ; attention_fwd.py:21:16
	s_cbranch_scc1 .LBB0_28
; %bb.27:
	.loc	1 20 35 is_stmt 1               ; attention_fwd.py:20:35
	s_mul_i32 s18, s4, s5
	.loc	1 20 47 is_stmt 0               ; attention_fwd.py:20:47
	v_lshlrev_b64_e32 v[19:20], 1, v[1:2]
	.loc	1 20 17                         ; attention_fwd.py:20:17
	s_wait_alu depctr_sa_sdst(0)
	s_ashr_i32 s19, s18, 31
	s_wait_alu depctr_sa_sdst(0)
	s_lshl_b64 s[18:19], s[18:19], 1
	s_wait_alu depctr_sa_sdst(0)
	s_add_nc_u64 s[18:19], s[2:3], s[18:19]
	.loc	1 20 47                         ; attention_fwd.py:20:47
	s_wait_alu depctr_sa_sdst(0)
	v_add_co_u32 v19, vcc_lo, s18, v19
	s_wait_alu depctr_va_vcc(0)
	v_add_co_ci_u32_e64 v20, null, s19, v20, vcc_lo
	.loc	1 21 16 is_stmt 1               ; attention_fwd.py:21:16
	global_load_u16 v17, v[19:20], off
.LBB0_28:
	.loc	1 17 46                         ; attention_fwd.py:17:46
	s_or_b32 s18, s40, 28
	v_dual_mov_b32 v19, 0 :: v_dual_mov_b32 v20, 0
	.loc	1 17 33 is_stmt 0               ; attention_fwd.py:17:33
	s_wait_alu depctr_sa_sdst(0)
	s_or_b32 s5, s18, s35
	.loc	1 21 47 is_stmt 1               ; attention_fwd.py:21:47
	s_wait_alu depctr_sa_sdst(0)
	s_cmp_ge_i32 s5, s34
	.loc	1 21 16 is_stmt 0               ; attention_fwd.py:21:16
	s_cbranch_scc1 .LBB0_30
; %bb.29:
	.loc	1 20 35 is_stmt 1               ; attention_fwd.py:20:35
	s_mul_i32 s20, s4, s5
	.loc	1 20 47 is_stmt 0               ; attention_fwd.py:20:47
	v_lshlrev_b64_e32 v[20:21], 1, v[1:2]
	.loc	1 20 17                         ; attention_fwd.py:20:17
	s_ashr_i32 s21, s20, 31
	s_delay_alu instid0(SALU_CYCLE_1) | instskip(NEXT) | instid1(SALU_CYCLE_1)
	s_lshl_b64 s[20:21], s[20:21], 1
	s_add_nc_u64 s[20:21], s[2:3], s[20:21]
	s_delay_alu instid0(VALU_DEP_1) | instid1(SALU_CYCLE_1)
	.loc	1 20 47                         ; attention_fwd.py:20:47
	v_add_co_u32 v20, vcc_lo, s20, v20
	s_wait_alu depctr_va_vcc(0)
	v_add_co_ci_u32_e64 v21, null, s21, v21, vcc_lo
	.loc	1 21 16 is_stmt 1               ; attention_fwd.py:21:16
	global_load_u16 v20, v[20:21], off
.LBB0_30:
	.loc	1 17 46                         ; attention_fwd.py:17:46
	s_or_b32 s19, s40, 30
	.loc	1 17 33 is_stmt 0               ; attention_fwd.py:17:33
	s_wait_alu depctr_sa_sdst(0)
	s_or_b32 s5, s19, s35
	.loc	1 21 47 is_stmt 1               ; attention_fwd.py:21:47
	s_wait_alu depctr_sa_sdst(0)
	s_cmp_ge_i32 s5, s34
	.loc	1 21 16 is_stmt 0               ; attention_fwd.py:21:16
	s_cbranch_scc1 .LBB0_32
; %bb.31:
	.loc	1 20 35 is_stmt 1               ; attention_fwd.py:20:35
	s_mul_i32 s20, s4, s5
	.loc	1 20 47 is_stmt 0               ; attention_fwd.py:20:47
	v_lshlrev_b64_e32 v[21:22], 1, v[1:2]
	.loc	1 20 17                         ; attention_fwd.py:20:17
	s_wait_alu depctr_sa_sdst(0)
	s_ashr_i32 s21, s20, 31
	s_wait_alu depctr_sa_sdst(0)
	s_lshl_b64 s[20:21], s[20:21], 1
	s_wait_alu depctr_sa_sdst(0)
	s_add_nc_u64 s[20:21], s[2:3], s[20:21]
	.loc	1 20 47                         ; attention_fwd.py:20:47
	s_wait_alu depctr_sa_sdst(0)
	v_add_co_u32 v21, vcc_lo, s20, v21
	s_wait_alu depctr_va_vcc(0)
	v_add_co_ci_u32_e64 v22, null, s21, v22, vcc_lo
	.loc	1 21 16 is_stmt 1               ; attention_fwd.py:21:16
	global_load_u16 v19, v[21:22], off
.LBB0_32:
	.loc	1 17 46                         ; attention_fwd.py:17:46
	s_or_b32 s20, s40, 32
	v_dual_mov_b32 v21, 0 :: v_dual_mov_b32 v22, 0
	.loc	1 17 33 is_stmt 0               ; attention_fwd.py:17:33
	s_wait_alu depctr_sa_sdst(0)
	s_or_b32 s5, s20, s35
	.loc	1 21 47 is_stmt 1               ; attention_fwd.py:21:47
	s_wait_alu depctr_sa_sdst(0)
	s_cmp_ge_i32 s5, s34
	.loc	1 21 16 is_stmt 0               ; attention_fwd.py:21:16
	s_cbranch_scc1 .LBB0_34
; %bb.33:
	.loc	1 20 35 is_stmt 1               ; attention_fwd.py:20:35
	s_mul_i32 s22, s4, s5
	.loc	1 20 47 is_stmt 0               ; attention_fwd.py:20:47
	v_lshlrev_b64_e32 v[22:23], 1, v[1:2]
	.loc	1 20 17                         ; attention_fwd.py:20:17
	s_ashr_i32 s23, s22, 31
	s_delay_alu instid0(SALU_CYCLE_1) | instskip(NEXT) | instid1(SALU_CYCLE_1)
	s_lshl_b64 s[22:23], s[22:23], 1
	s_add_nc_u64 s[22:23], s[2:3], s[22:23]
	s_delay_alu instid0(VALU_DEP_1) | instid1(SALU_CYCLE_1)
	.loc	1 20 47                         ; attention_fwd.py:20:47
	v_add_co_u32 v22, vcc_lo, s22, v22
	s_wait_alu depctr_va_vcc(0)
	v_add_co_ci_u32_e64 v23, null, s23, v23, vcc_lo
	.loc	1 21 16 is_stmt 1               ; attention_fwd.py:21:16
	global_load_u16 v22, v[22:23], off
.LBB0_34:
	.loc	1 17 46                         ; attention_fwd.py:17:46
	;; [unrolled: 59-line block ×7, first 2 shown]
	s_or_b32 s31, s40, 54
	.loc	1 17 33 is_stmt 0               ; attention_fwd.py:17:33
	s_wait_alu depctr_sa_sdst(0)
	s_or_b32 s5, s31, s35
	.loc	1 21 47 is_stmt 1               ; attention_fwd.py:21:47
	s_wait_alu depctr_sa_sdst(0)
	s_cmp_ge_i32 s5, s34
	.loc	1 21 16 is_stmt 0               ; attention_fwd.py:21:16
	s_cbranch_scc1 .LBB0_56
; %bb.55:
	.loc	1 20 35 is_stmt 1               ; attention_fwd.py:20:35
	s_mul_i32 s36, s4, s5
	.loc	1 20 47 is_stmt 0               ; attention_fwd.py:20:47
	v_lshlrev_b64_e32 v[33:34], 1, v[1:2]
	.loc	1 20 17                         ; attention_fwd.py:20:17
	s_wait_alu depctr_sa_sdst(0)
	s_ashr_i32 s37, s36, 31
	s_wait_alu depctr_sa_sdst(0)
	s_lshl_b64 s[36:37], s[36:37], 1
	s_wait_alu depctr_sa_sdst(0)
	s_add_nc_u64 s[36:37], s[2:3], s[36:37]
	.loc	1 20 47                         ; attention_fwd.py:20:47
	s_wait_alu depctr_sa_sdst(0)
	v_add_co_u32 v33, vcc_lo, s36, v33
	s_wait_alu depctr_va_vcc(0)
	v_add_co_ci_u32_e64 v34, null, s37, v34, vcc_lo
	.loc	1 21 16 is_stmt 1               ; attention_fwd.py:21:16
	global_load_u16 v31, v[33:34], off
.LBB0_56:
	.loc	1 17 46                         ; attention_fwd.py:17:46
	s_or_b32 s33, s40, 56
	v_dual_mov_b32 v33, 0 :: v_dual_mov_b32 v34, 0
	.loc	1 17 33 is_stmt 0               ; attention_fwd.py:17:33
	s_or_b32 s5, s33, s35
	.loc	1 21 47 is_stmt 1               ; attention_fwd.py:21:47
	s_wait_alu depctr_sa_sdst(0)
	s_cmp_ge_i32 s5, s34
	.loc	1 21 16 is_stmt 0               ; attention_fwd.py:21:16
	s_cbranch_scc1 .LBB0_58
; %bb.57:
	.loc	1 20 35 is_stmt 1               ; attention_fwd.py:20:35
	s_mul_i32 s36, s4, s5
	.loc	1 20 47 is_stmt 0               ; attention_fwd.py:20:47
	v_lshlrev_b64_e32 v[34:35], 1, v[1:2]
	.loc	1 20 17                         ; attention_fwd.py:20:17
	s_wait_alu depctr_sa_sdst(0)
	s_ashr_i32 s37, s36, 31
	s_wait_alu depctr_sa_sdst(0)
	s_lshl_b64 s[36:37], s[36:37], 1
	s_wait_alu depctr_sa_sdst(0)
	s_add_nc_u64 s[36:37], s[2:3], s[36:37]
	.loc	1 20 47                         ; attention_fwd.py:20:47
	s_wait_alu depctr_sa_sdst(0)
	v_add_co_u32 v34, vcc_lo, s36, v34
	s_wait_alu depctr_va_vcc(0)
	v_add_co_ci_u32_e64 v35, null, s37, v35, vcc_lo
	.loc	1 21 16 is_stmt 1               ; attention_fwd.py:21:16
	global_load_u16 v34, v[34:35], off
.LBB0_58:
	.loc	1 17 46                         ; attention_fwd.py:17:46
	s_or_b32 s36, s40, 58
	.loc	1 17 33 is_stmt 0               ; attention_fwd.py:17:33
	s_wait_alu depctr_sa_sdst(0)
	s_or_b32 s5, s36, s35
	.loc	1 21 47 is_stmt 1               ; attention_fwd.py:21:47
	s_wait_alu depctr_sa_sdst(0)
	s_cmp_ge_i32 s5, s34
	.loc	1 21 16 is_stmt 0               ; attention_fwd.py:21:16
	s_cbranch_scc1 .LBB0_60
; %bb.59:
	.loc	1 20 35 is_stmt 1               ; attention_fwd.py:20:35
	s_mul_i32 s42, s4, s5
	.loc	1 20 47 is_stmt 0               ; attention_fwd.py:20:47
	v_lshlrev_b64_e32 v[35:36], 1, v[1:2]
	.loc	1 20 17                         ; attention_fwd.py:20:17
	s_ashr_i32 s43, s42, 31
	s_delay_alu instid0(SALU_CYCLE_1) | instskip(NEXT) | instid1(SALU_CYCLE_1)
	s_lshl_b64 s[42:43], s[42:43], 1
	s_add_nc_u64 s[42:43], s[2:3], s[42:43]
	s_delay_alu instid0(VALU_DEP_1) | instid1(SALU_CYCLE_1)
	.loc	1 20 47                         ; attention_fwd.py:20:47
	v_add_co_u32 v35, vcc_lo, s42, v35
	s_wait_alu depctr_va_vcc(0)
	v_add_co_ci_u32_e64 v36, null, s43, v36, vcc_lo
	.loc	1 21 16 is_stmt 1               ; attention_fwd.py:21:16
	global_load_u16 v33, v[35:36], off
.LBB0_60:
	.loc	1 17 46                         ; attention_fwd.py:17:46
	s_or_b32 s37, s40, 60
	v_dual_mov_b32 v35, 0 :: v_dual_mov_b32 v36, 0
	.loc	1 17 33 is_stmt 0               ; attention_fwd.py:17:33
	s_wait_alu depctr_sa_sdst(0)
	s_or_b32 s5, s37, s35
	.loc	1 21 47 is_stmt 1               ; attention_fwd.py:21:47
	s_wait_alu depctr_sa_sdst(0)
	s_cmp_ge_i32 s5, s34
	.loc	1 21 16 is_stmt 0               ; attention_fwd.py:21:16
	s_cbranch_scc1 .LBB0_62
; %bb.61:
	.loc	1 20 35 is_stmt 1               ; attention_fwd.py:20:35
	s_mul_i32 s42, s4, s5
	.loc	1 20 47 is_stmt 0               ; attention_fwd.py:20:47
	v_lshlrev_b64_e32 v[36:37], 1, v[1:2]
	.loc	1 20 17                         ; attention_fwd.py:20:17
	s_wait_alu depctr_sa_sdst(0)
	s_ashr_i32 s43, s42, 31
	s_wait_alu depctr_sa_sdst(0)
	s_lshl_b64 s[42:43], s[42:43], 1
	s_wait_alu depctr_sa_sdst(0)
	s_add_nc_u64 s[42:43], s[2:3], s[42:43]
	.loc	1 20 47                         ; attention_fwd.py:20:47
	s_wait_alu depctr_sa_sdst(0)
	v_add_co_u32 v36, vcc_lo, s42, v36
	s_wait_alu depctr_va_vcc(0)
	v_add_co_ci_u32_e64 v37, null, s43, v37, vcc_lo
	.loc	1 21 16 is_stmt 1               ; attention_fwd.py:21:16
	global_load_u16 v36, v[36:37], off
.LBB0_62:
	.loc	1 0 16 is_stmt 0                ; attention_fwd.py:0:16
	s_load_b32 s5, s[48:49], 0x30
	.loc	1 17 46 is_stmt 1               ; attention_fwd.py:17:46
	s_or_b32 s38, s40, 62
	s_and_b32 s39, s39, 2
	.loc	1 17 33 is_stmt 0               ; attention_fwd.py:17:33
	s_or_b32 s41, s38, s35
	s_delay_alu instid0(SALU_CYCLE_1)
	.loc	1 21 47 is_stmt 1               ; attention_fwd.py:21:47
	s_cmp_ge_i32 s41, s34
	.loc	1 21 16 is_stmt 0               ; attention_fwd.py:21:16
	s_cbranch_scc1 .LBB0_64
; %bb.63:
	.loc	1 20 35 is_stmt 1               ; attention_fwd.py:20:35
	s_mul_i32 s42, s4, s41
	.loc	1 20 47 is_stmt 0               ; attention_fwd.py:20:47
	v_lshlrev_b64_e32 v[1:2], 1, v[1:2]
	.loc	1 20 17                         ; attention_fwd.py:20:17
	s_wait_alu depctr_sa_sdst(0)
	s_ashr_i32 s43, s42, 31
	s_wait_alu depctr_sa_sdst(0)
	s_lshl_b64 s[42:43], s[42:43], 1
	s_wait_alu depctr_sa_sdst(0)
	s_add_nc_u64 s[2:3], s[2:3], s[42:43]
	s_delay_alu instid0(SALU_CYCLE_1)
	.loc	1 20 47                         ; attention_fwd.py:20:47
	v_add_co_u32 v1, vcc_lo, s2, v1
	s_wait_alu depctr_va_vcc(0)
	v_add_co_ci_u32_e64 v2, null, s3, v2, vcc_lo
	.loc	1 21 16 is_stmt 1               ; attention_fwd.py:21:16
	global_load_u16 v35, v[1:2], off
.LBB0_64:
	.loc	1 17 46                         ; attention_fwd.py:17:46
	s_and_b32 s46, s16, 0x60
	.loc	1 21 16                         ; attention_fwd.py:21:16
	v_lshlrev_b32_e32 v1, 1, v3
	.loc	1 17 46                         ; attention_fwd.py:17:46
	s_cmp_eq_u32 s39, 0
	v_and_b32_e32 v100, 15, v0
	.loc	1 21 16                         ; attention_fwd.py:21:16
	s_cselect_b32 s2, 0, 0x90
	s_wait_alu depctr_sa_sdst(0)
	v_xor_b32_e32 v1, s2, v1
	s_lshl_b32 s2, s46, 6
	.loc	1 34 51                         ; attention_fwd.py:34:51
	s_cmp_lt_i32 s40, s34
	s_cselect_b32 s39, -1, 0
	s_delay_alu instid0(VALU_DEP_1)
	v_xor_b32_e32 v2, 32, v1
	.loc	1 21 16                         ; attention_fwd.py:21:16
	v_add_nc_u32_e32 v102, 0, v1
	v_xor_b32_e32 v37, 64, v1
	v_xor_b32_e32 v1, 0x60, v1
	s_wait_loadcnt 0x0
	ds_store_b16 v102, v6
	ds_store_b16 v102, v10 offset:1024
	ds_store_b16 v102, v14 offset:2048
	;; [unrolled: 1-line block ×7, first 2 shown]
	v_dual_mov_b32 v34, 0 :: v_dual_add_nc_u32 v103, 0, v2
	v_add_nc_u32_e32 v105, 0, v1
	v_lshlrev_b32_e32 v1, 4, v0
	v_add_nc_u32_e32 v104, 0, v37
	ds_store_b16 v103, v5 offset:256
	ds_store_b16 v103, v9 offset:1280
	;; [unrolled: 1-line block ×8, first 2 shown]
	.loc	1 17 46                         ; attention_fwd.py:17:46
	v_and_b32_e32 v5, 16, v0
	.loc	1 21 16                         ; attention_fwd.py:21:16
	ds_store_b16 v104, v8 offset:512
	ds_store_b16 v104, v12 offset:1536
	;; [unrolled: 1-line block ×8, first 2 shown]
	v_and_b32_e32 v6, 0x70, v1
	ds_store_b16 v105, v7 offset:768
	ds_store_b16 v105, v11 offset:1792
	;; [unrolled: 1-line block ×8, first 2 shown]
	s_wait_dscnt 0x0
	s_barrier_signal -1
	v_lshlrev_b32_e32 v7, 7, v100
	v_xor_b32_e32 v0, v6, v5
	v_mov_b32_e32 v32, 0
	.loc	1 34 51                         ; attention_fwd.py:34:51
	s_cmp_ge_i32 s40, s34
	.loc	1 21 16                         ; attention_fwd.py:21:16
	s_wait_alu depctr_sa_sdst(0)
	s_delay_alu instid0(VALU_DEP_2) | instskip(SKIP_3) | instid1(VALU_DEP_1)
	v_or3_b32 v0, s2, v0, v7
	s_clause 0x1
	s_load_b64 s[2:3], s[48:49], 0x8
	s_load_b32 s16, s[48:49], 0x2c
	v_add_nc_u32_e32 v1, 0, v0
	v_xad_u32 v2, v0, 32, 0
	v_xad_u32 v8, v0, 64, 0
	;; [unrolled: 1-line block ×3, first 2 shown]
	s_barrier_wait -1
	global_inv scope:SCOPE_SE
	ds_load_b128 v[76:79], v1
	ds_load_b128 v[72:75], v2
	ds_load_b128 v[68:71], v8
	ds_load_b128 v[64:67], v0
	.loc	1 33 69                         ; attention_fwd.py:33:69
	s_wait_kmcnt 0x0
	v_mul_lo_u32 v0, s5, v3
	s_delay_alu instid0(VALU_DEP_1) | instskip(NEXT) | instid1(VALU_DEP_1)
	.loc	1 33 51 is_stmt 0               ; attention_fwd.py:33:51
	v_ashrrev_i32_e32 v1, 31, v0
	v_lshlrev_b64_e32 v[0:1], 1, v[0:1]
	.loc	1 34 20 is_stmt 1               ; attention_fwd.py:34:20
	s_cbranch_scc1 .LBB0_66
; %bb.65:
	.loc	1 0 20 is_stmt 0                ; attention_fwd.py:0:20
	s_mul_i32 s4, s16, s40
	s_wait_alu depctr_sa_sdst(0)
	s_ashr_i32 s5, s4, 31
	s_wait_alu depctr_sa_sdst(0)
	s_lshl_b64 s[4:5], s[4:5], 1
	s_wait_alu depctr_sa_sdst(0)
	s_add_nc_u64 s[4:5], s[2:3], s[4:5]
	s_wait_alu depctr_sa_sdst(0)
	v_add_co_u32 v8, vcc_lo, s4, v0
	s_wait_alu depctr_va_vcc(0)
	v_add_co_ci_u32_e64 v9, null, s5, v1, vcc_lo
	.loc	1 34 20                         ; attention_fwd.py:34:20
	global_load_u16 v34, v[8:9], off
.LBB0_66:
	.loc	1 31 32 is_stmt 1               ; attention_fwd.py:31:32
	s_cmp_gt_i32 s34, 0
	s_cselect_b32 s4, -1, 0
	.loc	1 34 51                         ; attention_fwd.py:34:51
	s_cmp_lt_i32 s0, s34
	s_cselect_b32 s5, -1, 0
	.loc	1 31 32                         ; attention_fwd.py:31:32
	s_wait_alu depctr_sa_sdst(0)
	s_and_b32 s5, s4, s5
	.loc	1 34 20                         ; attention_fwd.py:34:20
	s_wait_alu depctr_sa_sdst(0)
	v_cndmask_b32_e64 v8, 0, 1, s5
	s_and_not1_b32 vcc_lo, exec_lo, s5
	s_wait_alu depctr_sa_sdst(0)
	s_cbranch_vccnz .LBB0_68
; %bb.67:
	.loc	1 33 39                         ; attention_fwd.py:33:39
	s_mul_i32 s42, s16, s0
	.loc	1 33 21 is_stmt 0               ; attention_fwd.py:33:21
	s_wait_alu depctr_sa_sdst(0)
	s_ashr_i32 s43, s42, 31
	s_wait_alu depctr_sa_sdst(0)
	s_lshl_b64 s[42:43], s[42:43], 1
	s_wait_alu depctr_sa_sdst(0)
	s_add_nc_u64 s[42:43], s[2:3], s[42:43]
	.loc	1 33 51                         ; attention_fwd.py:33:51
	s_wait_alu depctr_sa_sdst(0)
	v_add_co_u32 v9, vcc_lo, s42, v0
	s_wait_alu depctr_va_vcc(0)
	v_add_co_ci_u32_e64 v10, null, s43, v1, vcc_lo
	.loc	1 34 20 is_stmt 1               ; attention_fwd.py:34:20
	global_load_u16 v32, v[9:10], off
.LBB0_68:
	.loc	1 34 51 is_stmt 0               ; attention_fwd.py:34:51
	s_cmp_lt_i32 s1, s34
	v_mov_b32_e32 v33, 0
	s_cselect_b32 s5, -1, 0
	v_mov_b32_e32 v35, 0
	.loc	1 31 32 is_stmt 1               ; attention_fwd.py:31:32
	s_wait_alu depctr_sa_sdst(0)
	s_and_b32 s5, s4, s5
	.loc	1 34 20                         ; attention_fwd.py:34:20
	s_wait_alu depctr_sa_sdst(0)
	v_cndmask_b32_e64 v9, 0, 1, s5
	s_and_not1_b32 vcc_lo, exec_lo, s5
	s_wait_alu depctr_sa_sdst(0)
	s_cbranch_vccnz .LBB0_70
; %bb.69:
	.loc	1 33 39                         ; attention_fwd.py:33:39
	s_mul_i32 s42, s16, s1
	.loc	1 33 21 is_stmt 0               ; attention_fwd.py:33:21
	s_wait_alu depctr_sa_sdst(0)
	s_ashr_i32 s43, s42, 31
	s_wait_alu depctr_sa_sdst(0)
	s_lshl_b64 s[42:43], s[42:43], 1
	s_wait_alu depctr_sa_sdst(0)
	s_add_nc_u64 s[42:43], s[2:3], s[42:43]
	.loc	1 33 51                         ; attention_fwd.py:33:51
	s_wait_alu depctr_sa_sdst(0)
	v_add_co_u32 v10, vcc_lo, s42, v0
	s_wait_alu depctr_va_vcc(0)
	v_add_co_ci_u32_e64 v11, null, s43, v1, vcc_lo
	.loc	1 34 20 is_stmt 1               ; attention_fwd.py:34:20
	global_load_u16 v35, v[10:11], off
.LBB0_70:
	.loc	1 34 51 is_stmt 0               ; attention_fwd.py:34:51
	s_cmp_lt_i32 s6, s34
	s_cselect_b32 s5, -1, 0
	.loc	1 31 32 is_stmt 1               ; attention_fwd.py:31:32
	s_wait_alu depctr_sa_sdst(0)
	s_and_b32 s5, s4, s5
	.loc	1 34 20                         ; attention_fwd.py:34:20
	s_wait_alu depctr_sa_sdst(0)
	v_cndmask_b32_e64 v10, 0, 1, s5
	s_and_not1_b32 vcc_lo, exec_lo, s5
	s_wait_alu depctr_sa_sdst(0)
	s_cbranch_vccnz .LBB0_72
; %bb.71:
	.loc	1 33 39                         ; attention_fwd.py:33:39
	s_mul_i32 s42, s16, s6
	.loc	1 33 21 is_stmt 0               ; attention_fwd.py:33:21
	s_wait_alu depctr_sa_sdst(0)
	s_ashr_i32 s43, s42, 31
	s_wait_alu depctr_sa_sdst(0)
	s_lshl_b64 s[42:43], s[42:43], 1
	s_wait_alu depctr_sa_sdst(0)
	s_add_nc_u64 s[42:43], s[2:3], s[42:43]
	.loc	1 33 51                         ; attention_fwd.py:33:51
	s_wait_alu depctr_sa_sdst(0)
	v_add_co_u32 v11, vcc_lo, s42, v0
	s_wait_alu depctr_va_vcc(0)
	v_add_co_ci_u32_e64 v12, null, s43, v1, vcc_lo
	.loc	1 34 20 is_stmt 1               ; attention_fwd.py:34:20
	global_load_u16 v33, v[11:12], off
.LBB0_72:
	.loc	1 34 51 is_stmt 0               ; attention_fwd.py:34:51
	s_cmp_lt_i32 s7, s34
	v_mov_b32_e32 v36, 0
	s_cselect_b32 s5, -1, 0
	v_mov_b32_e32 v40, 0
	.loc	1 31 32 is_stmt 1               ; attention_fwd.py:31:32
	s_wait_alu depctr_sa_sdst(0)
	s_and_b32 s5, s4, s5
	.loc	1 34 20                         ; attention_fwd.py:34:20
	s_wait_alu depctr_sa_sdst(0)
	v_cndmask_b32_e64 v11, 0, 1, s5
	s_and_not1_b32 vcc_lo, exec_lo, s5
	s_wait_alu depctr_sa_sdst(0)
	s_cbranch_vccnz .LBB0_74
; %bb.73:
	.loc	1 33 39                         ; attention_fwd.py:33:39
	s_mul_i32 s42, s16, s7
	.loc	1 33 21 is_stmt 0               ; attention_fwd.py:33:21
	s_wait_alu depctr_sa_sdst(0)
	s_ashr_i32 s43, s42, 31
	s_wait_alu depctr_sa_sdst(0)
	s_lshl_b64 s[42:43], s[42:43], 1
	s_wait_alu depctr_sa_sdst(0)
	s_add_nc_u64 s[42:43], s[2:3], s[42:43]
	.loc	1 33 51                         ; attention_fwd.py:33:51
	s_wait_alu depctr_sa_sdst(0)
	v_add_co_u32 v12, vcc_lo, s42, v0
	s_wait_alu depctr_va_vcc(0)
	v_add_co_ci_u32_e64 v13, null, s43, v1, vcc_lo
	.loc	1 34 20 is_stmt 1               ; attention_fwd.py:34:20
	global_load_u16 v40, v[12:13], off
.LBB0_74:
	.loc	1 34 51 is_stmt 0               ; attention_fwd.py:34:51
	s_cmp_lt_i32 s8, s34
	s_cselect_b32 s5, -1, 0
	.loc	1 31 32 is_stmt 1               ; attention_fwd.py:31:32
	s_wait_alu depctr_sa_sdst(0)
	s_and_b32 s5, s4, s5
	.loc	1 34 20                         ; attention_fwd.py:34:20
	s_wait_alu depctr_sa_sdst(0)
	v_cndmask_b32_e64 v12, 0, 1, s5
	s_and_not1_b32 vcc_lo, exec_lo, s5
	s_wait_alu depctr_sa_sdst(0)
	s_cbranch_vccnz .LBB0_76
; %bb.75:
	.loc	1 33 39                         ; attention_fwd.py:33:39
	s_mul_i32 s42, s16, s8
	.loc	1 33 21 is_stmt 0               ; attention_fwd.py:33:21
	s_wait_alu depctr_sa_sdst(0)
	s_ashr_i32 s43, s42, 31
	s_wait_alu depctr_sa_sdst(0)
	s_lshl_b64 s[42:43], s[42:43], 1
	s_wait_alu depctr_sa_sdst(0)
	s_add_nc_u64 s[42:43], s[2:3], s[42:43]
	.loc	1 33 51                         ; attention_fwd.py:33:51
	s_wait_alu depctr_sa_sdst(0)
	v_add_co_u32 v13, vcc_lo, s42, v0
	s_wait_alu depctr_va_vcc(0)
	v_add_co_ci_u32_e64 v14, null, s43, v1, vcc_lo
	.loc	1 34 20 is_stmt 1               ; attention_fwd.py:34:20
	global_load_u16 v36, v[13:14], off
.LBB0_76:
	.loc	1 34 51 is_stmt 0               ; attention_fwd.py:34:51
	s_cmp_lt_i32 s9, s34
	v_dual_mov_b32 v38, 0 :: v_dual_mov_b32 v41, 0
	s_cselect_b32 s5, -1, 0
	.loc	1 31 32 is_stmt 1               ; attention_fwd.py:31:32
	s_wait_alu depctr_sa_sdst(0)
	s_and_b32 s5, s4, s5
	.loc	1 34 20                         ; attention_fwd.py:34:20
	s_wait_alu depctr_sa_sdst(0)
	v_cndmask_b32_e64 v13, 0, 1, s5
	s_and_not1_b32 vcc_lo, exec_lo, s5
	s_wait_alu depctr_sa_sdst(0)
	s_cbranch_vccnz .LBB0_78
; %bb.77:
	.loc	1 33 39                         ; attention_fwd.py:33:39
	s_mul_i32 s42, s16, s9
	.loc	1 33 21 is_stmt 0               ; attention_fwd.py:33:21
	s_wait_alu depctr_sa_sdst(0)
	s_ashr_i32 s43, s42, 31
	s_wait_alu depctr_sa_sdst(0)
	s_lshl_b64 s[42:43], s[42:43], 1
	s_wait_alu depctr_sa_sdst(0)
	s_add_nc_u64 s[42:43], s[2:3], s[42:43]
	.loc	1 33 51                         ; attention_fwd.py:33:51
	s_wait_alu depctr_sa_sdst(0)
	v_add_co_u32 v14, vcc_lo, s42, v0
	s_wait_alu depctr_va_vcc(0)
	v_add_co_ci_u32_e64 v15, null, s43, v1, vcc_lo
	.loc	1 34 20 is_stmt 1               ; attention_fwd.py:34:20
	global_load_u16 v41, v[14:15], off
.LBB0_78:
	.loc	1 34 51 is_stmt 0               ; attention_fwd.py:34:51
	s_cmp_lt_i32 s10, s34
	s_cselect_b32 s5, -1, 0
	.loc	1 31 32 is_stmt 1               ; attention_fwd.py:31:32
	s_wait_alu depctr_sa_sdst(0)
	s_and_b32 s5, s4, s5
	.loc	1 34 20                         ; attention_fwd.py:34:20
	s_wait_alu depctr_sa_sdst(0)
	v_cndmask_b32_e64 v14, 0, 1, s5
	s_and_not1_b32 vcc_lo, exec_lo, s5
	s_wait_alu depctr_sa_sdst(0)
	s_cbranch_vccnz .LBB0_80
; %bb.79:
	.loc	1 33 39                         ; attention_fwd.py:33:39
	s_mul_i32 s42, s16, s10
	.loc	1 33 21 is_stmt 0               ; attention_fwd.py:33:21
	s_wait_alu depctr_sa_sdst(0)
	s_ashr_i32 s43, s42, 31
	s_wait_alu depctr_sa_sdst(0)
	s_lshl_b64 s[42:43], s[42:43], 1
	s_wait_alu depctr_sa_sdst(0)
	s_add_nc_u64 s[42:43], s[2:3], s[42:43]
	.loc	1 33 51                         ; attention_fwd.py:33:51
	s_wait_alu depctr_sa_sdst(0)
	v_add_co_u32 v15, vcc_lo, s42, v0
	s_wait_alu depctr_va_vcc(0)
	v_add_co_ci_u32_e64 v16, null, s43, v1, vcc_lo
	.loc	1 34 20 is_stmt 1               ; attention_fwd.py:34:20
	global_load_u16 v38, v[15:16], off
.LBB0_80:
	.loc	1 34 51 is_stmt 0               ; attention_fwd.py:34:51
	s_cmp_lt_i32 s11, s34
	v_mov_b32_e32 v42, 0
	s_cselect_b32 s5, -1, 0
	v_mov_b32_e32 v44, 0
	.loc	1 31 32 is_stmt 1               ; attention_fwd.py:31:32
	s_wait_alu depctr_sa_sdst(0)
	s_and_b32 s5, s4, s5
	.loc	1 34 20                         ; attention_fwd.py:34:20
	s_wait_alu depctr_sa_sdst(0)
	v_cndmask_b32_e64 v15, 0, 1, s5
	s_and_not1_b32 vcc_lo, exec_lo, s5
	s_wait_alu depctr_sa_sdst(0)
	s_cbranch_vccnz .LBB0_82
; %bb.81:
	.loc	1 33 39                         ; attention_fwd.py:33:39
	s_mul_i32 s42, s16, s11
	.loc	1 33 21 is_stmt 0               ; attention_fwd.py:33:21
	s_wait_alu depctr_sa_sdst(0)
	s_ashr_i32 s43, s42, 31
	s_wait_alu depctr_sa_sdst(0)
	s_lshl_b64 s[42:43], s[42:43], 1
	s_wait_alu depctr_sa_sdst(0)
	s_add_nc_u64 s[42:43], s[2:3], s[42:43]
	.loc	1 33 51                         ; attention_fwd.py:33:51
	s_wait_alu depctr_sa_sdst(0)
	v_add_co_u32 v16, vcc_lo, s42, v0
	s_wait_alu depctr_va_vcc(0)
	v_add_co_ci_u32_e64 v17, null, s43, v1, vcc_lo
	.loc	1 34 20 is_stmt 1               ; attention_fwd.py:34:20
	global_load_u16 v44, v[16:17], off
.LBB0_82:
	.loc	1 34 51 is_stmt 0               ; attention_fwd.py:34:51
	s_cmp_lt_i32 s12, s34
	s_cselect_b32 s5, -1, 0
	.loc	1 31 32 is_stmt 1               ; attention_fwd.py:31:32
	s_wait_alu depctr_sa_sdst(0)
	s_and_b32 s5, s4, s5
	.loc	1 34 20                         ; attention_fwd.py:34:20
	s_wait_alu depctr_sa_sdst(0)
	v_cndmask_b32_e64 v16, 0, 1, s5
	s_and_not1_b32 vcc_lo, exec_lo, s5
	s_wait_alu depctr_sa_sdst(0)
	s_cbranch_vccnz .LBB0_84
; %bb.83:
	.loc	1 33 39                         ; attention_fwd.py:33:39
	s_mul_i32 s42, s16, s12
	.loc	1 33 21 is_stmt 0               ; attention_fwd.py:33:21
	s_wait_alu depctr_sa_sdst(0)
	s_ashr_i32 s43, s42, 31
	s_wait_alu depctr_sa_sdst(0)
	s_lshl_b64 s[42:43], s[42:43], 1
	s_wait_alu depctr_sa_sdst(0)
	s_add_nc_u64 s[42:43], s[2:3], s[42:43]
	.loc	1 33 51                         ; attention_fwd.py:33:51
	s_wait_alu depctr_sa_sdst(0)
	v_add_co_u32 v17, vcc_lo, s42, v0
	s_wait_alu depctr_va_vcc(0)
	v_add_co_ci_u32_e64 v18, null, s43, v1, vcc_lo
	.loc	1 34 20 is_stmt 1               ; attention_fwd.py:34:20
	global_load_u16 v42, v[17:18], off
.LBB0_84:
	.loc	1 34 51 is_stmt 0               ; attention_fwd.py:34:51
	s_cmp_lt_i32 s13, s34
	v_mov_b32_e32 v43, 0
	s_cselect_b32 s5, -1, 0
	v_mov_b32_e32 v45, 0
	;; [unrolled: 62-line block ×12, first 2 shown]
	.loc	1 31 32 is_stmt 1               ; attention_fwd.py:31:32
	s_wait_alu depctr_sa_sdst(0)
	s_and_b32 s5, s4, s5
	.loc	1 34 20                         ; attention_fwd.py:34:20
	s_wait_alu depctr_sa_sdst(0)
	v_cndmask_b32_e64 v85, 0, 1, s5
	s_and_not1_b32 vcc_lo, exec_lo, s5
	s_wait_alu depctr_sa_sdst(0)
	s_cbranch_vccnz .LBB0_126
; %bb.125:
	.loc	1 33 39                         ; attention_fwd.py:33:39
	s_mul_i32 s42, s16, s37
	.loc	1 33 21 is_stmt 0               ; attention_fwd.py:33:21
	s_wait_alu depctr_sa_sdst(0)
	s_ashr_i32 s43, s42, 31
	s_wait_alu depctr_sa_sdst(0)
	s_lshl_b64 s[42:43], s[42:43], 1
	s_wait_alu depctr_sa_sdst(0)
	s_add_nc_u64 s[42:43], s[2:3], s[42:43]
	.loc	1 33 51                         ; attention_fwd.py:33:51
	s_wait_alu depctr_sa_sdst(0)
	v_add_co_u32 v86, vcc_lo, s42, v0
	s_wait_alu depctr_va_vcc(0)
	v_add_co_ci_u32_e64 v87, null, s43, v1, vcc_lo
	.loc	1 34 20 is_stmt 1               ; attention_fwd.py:34:20
	global_load_u16 v81, v[86:87], off
.LBB0_126:
	.loc	1 0 20 is_stmt 0                ; attention_fwd.py:0:20
	s_load_b32 s41, s[48:49], 0x38
	.loc	1 34 51                         ; attention_fwd.py:34:51
	s_cmp_lt_i32 s38, s34
	s_cselect_b32 s5, -1, 0
	.loc	1 31 32 is_stmt 1               ; attention_fwd.py:31:32
	s_wait_alu depctr_sa_sdst(0)
	s_and_b32 s4, s4, s5
	.loc	1 34 20                         ; attention_fwd.py:34:20
	s_wait_alu depctr_sa_sdst(0)
	v_cndmask_b32_e64 v86, 0, 1, s4
	s_and_not1_b32 vcc_lo, exec_lo, s4
	s_wait_alu depctr_sa_sdst(0)
	s_cbranch_vccnz .LBB0_128
; %bb.127:
	.loc	1 33 39                         ; attention_fwd.py:33:39
	s_mul_i32 s4, s16, s38
	.loc	1 33 21 is_stmt 0               ; attention_fwd.py:33:21
	s_wait_alu depctr_sa_sdst(0)
	s_ashr_i32 s5, s4, 31
	s_wait_alu depctr_sa_sdst(0)
	s_lshl_b64 s[4:5], s[4:5], 1
	s_wait_alu depctr_sa_sdst(0)
	s_add_nc_u64 s[4:5], s[2:3], s[4:5]
	.loc	1 33 51                         ; attention_fwd.py:33:51
	s_wait_alu depctr_sa_sdst(0)
	v_add_co_u32 v87, vcc_lo, s4, v0
	s_wait_alu depctr_va_vcc(0)
	v_add_co_ci_u32_e64 v88, null, s5, v1, vcc_lo
	.loc	1 34 20 is_stmt 1               ; attention_fwd.py:34:20
	global_load_u16 v63, v[87:88], off
.LBB0_128:
	.loc	1 0 20 is_stmt 0                ; attention_fwd.py:0:20
	s_clause 0x1
	s_load_b64 s[4:5], s[48:49], 0x10
	s_load_b32 s43, s[48:49], 0x34
	.loc	1 44 69 is_stmt 1               ; attention_fwd.py:44:69
	s_wait_kmcnt 0x0
	v_mul_lo_u32 v2, s41, v3
	v_dual_mov_b32 v87, 0 :: v_dual_mov_b32 v88, 0
	.loc	1 45 20                         ; attention_fwd.py:45:20
	s_and_not1_b32 vcc_lo, exec_lo, s39
	s_delay_alu instid0(VALU_DEP_2) | instskip(NEXT) | instid1(VALU_DEP_1)
	.loc	1 44 51                         ; attention_fwd.py:44:51
	v_ashrrev_i32_e32 v3, 31, v2
	v_lshlrev_b64_e32 v[2:3], 1, v[2:3]
	.loc	1 45 20                         ; attention_fwd.py:45:20
	s_wait_alu depctr_sa_sdst(0)
	s_cbranch_vccnz .LBB0_130
; %bb.129:
	.loc	1 0 20 is_stmt 0                ; attention_fwd.py:0:20
	s_mul_i32 s44, s43, s40
	s_delay_alu instid0(SALU_CYCLE_1) | instskip(NEXT) | instid1(SALU_CYCLE_1)
	s_ashr_i32 s45, s44, 31
	s_lshl_b64 s[44:45], s[44:45], 1
	s_delay_alu instid0(SALU_CYCLE_1) | instskip(NEXT) | instid1(SALU_CYCLE_1)
	s_add_nc_u64 s[44:45], s[4:5], s[44:45]
	v_add_co_u32 v88, vcc_lo, s44, v2
	s_wait_alu depctr_va_vcc(0)
	v_add_co_ci_u32_e64 v89, null, s45, v3, vcc_lo
	.loc	1 45 20                         ; attention_fwd.py:45:20
	global_load_u16 v88, v[88:89], off
.LBB0_130:
	v_cmp_ne_u32_e32 vcc_lo, 1, v8
	s_cbranch_vccnz .LBB0_132
; %bb.131:
	.loc	1 44 39 is_stmt 1               ; attention_fwd.py:44:39
	s_mul_i32 s44, s43, s0
	.loc	1 44 21 is_stmt 0               ; attention_fwd.py:44:21
	s_wait_alu depctr_sa_sdst(0)
	s_ashr_i32 s45, s44, 31
	s_wait_alu depctr_sa_sdst(0)
	s_lshl_b64 s[44:45], s[44:45], 1
	s_wait_alu depctr_sa_sdst(0)
	s_add_nc_u64 s[44:45], s[4:5], s[44:45]
	.loc	1 44 51                         ; attention_fwd.py:44:51
	s_wait_alu depctr_sa_sdst(0)
	v_add_co_u32 v89, vcc_lo, s44, v2
	s_wait_alu depctr_va_vcc(0)
	v_add_co_ci_u32_e64 v90, null, s45, v3, vcc_lo
	.loc	1 45 20 is_stmt 1               ; attention_fwd.py:45:20
	global_load_u16 v87, v[89:90], off
.LBB0_132:
	v_cmp_ne_u32_e32 vcc_lo, 1, v9
	v_dual_mov_b32 v8, 0 :: v_dual_mov_b32 v9, 0
	s_cbranch_vccnz .LBB0_134
; %bb.133:
	.loc	1 44 39                         ; attention_fwd.py:44:39
	s_mul_i32 s0, s43, s1
	.loc	1 44 21 is_stmt 0               ; attention_fwd.py:44:21
	s_wait_alu depctr_sa_sdst(0)
	s_ashr_i32 s1, s0, 31
	s_wait_alu depctr_sa_sdst(0)
	s_lshl_b64 s[0:1], s[0:1], 1
	s_wait_alu depctr_sa_sdst(0)
	s_add_nc_u64 s[0:1], s[4:5], s[0:1]
	.loc	1 44 51                         ; attention_fwd.py:44:51
	s_wait_alu depctr_sa_sdst(0)
	v_add_co_u32 v89, vcc_lo, s0, v2
	s_wait_alu depctr_va_vcc(0)
	v_add_co_ci_u32_e64 v90, null, s1, v3, vcc_lo
	.loc	1 45 20 is_stmt 1               ; attention_fwd.py:45:20
	global_load_u16 v9, v[89:90], off
.LBB0_134:
	v_cmp_ne_u32_e32 vcc_lo, 1, v10
	s_cbranch_vccnz .LBB0_136
; %bb.135:
	.loc	1 44 39                         ; attention_fwd.py:44:39
	s_mul_i32 s0, s43, s6
	.loc	1 44 21 is_stmt 0               ; attention_fwd.py:44:21
	s_wait_alu depctr_sa_sdst(0)
	s_ashr_i32 s1, s0, 31
	s_wait_alu depctr_sa_sdst(0)
	s_lshl_b64 s[0:1], s[0:1], 1
	s_wait_alu depctr_sa_sdst(0)
	s_add_nc_u64 s[0:1], s[4:5], s[0:1]
	.loc	1 44 51                         ; attention_fwd.py:44:51
	s_wait_alu depctr_sa_sdst(0)
	v_add_co_u32 v89, vcc_lo, s0, v2
	s_wait_alu depctr_va_vcc(0)
	v_add_co_ci_u32_e64 v90, null, s1, v3, vcc_lo
	.loc	1 45 20 is_stmt 1               ; attention_fwd.py:45:20
	global_load_u16 v8, v[89:90], off
.LBB0_136:
	v_cmp_ne_u32_e32 vcc_lo, 1, v11
	v_dual_mov_b32 v10, 0 :: v_dual_mov_b32 v11, 0
	s_cbranch_vccnz .LBB0_138
; %bb.137:
	.loc	1 44 39                         ; attention_fwd.py:44:39
	s_mul_i32 s0, s43, s7
	.loc	1 44 21 is_stmt 0               ; attention_fwd.py:44:21
	s_wait_alu depctr_sa_sdst(0)
	s_ashr_i32 s1, s0, 31
	s_wait_alu depctr_sa_sdst(0)
	s_lshl_b64 s[0:1], s[0:1], 1
	s_wait_alu depctr_sa_sdst(0)
	s_add_nc_u64 s[0:1], s[4:5], s[0:1]
	.loc	1 44 51                         ; attention_fwd.py:44:51
	s_wait_alu depctr_sa_sdst(0)
	v_add_co_u32 v89, vcc_lo, s0, v2
	s_wait_alu depctr_va_vcc(0)
	v_add_co_ci_u32_e64 v90, null, s1, v3, vcc_lo
	.loc	1 45 20 is_stmt 1               ; attention_fwd.py:45:20
	global_load_u16 v11, v[89:90], off
.LBB0_138:
	v_cmp_ne_u32_e32 vcc_lo, 1, v12
	s_cbranch_vccnz .LBB0_140
; %bb.139:
	.loc	1 44 39                         ; attention_fwd.py:44:39
	s_mul_i32 s0, s43, s8
	.loc	1 44 21 is_stmt 0               ; attention_fwd.py:44:21
	s_wait_alu depctr_sa_sdst(0)
	s_ashr_i32 s1, s0, 31
	s_wait_alu depctr_sa_sdst(0)
	s_lshl_b64 s[0:1], s[0:1], 1
	s_wait_alu depctr_sa_sdst(0)
	s_add_nc_u64 s[0:1], s[4:5], s[0:1]
	.loc	1 44 51                         ; attention_fwd.py:44:51
	s_wait_alu depctr_sa_sdst(0)
	v_add_co_u32 v89, vcc_lo, s0, v2
	s_wait_alu depctr_va_vcc(0)
	v_add_co_ci_u32_e64 v90, null, s1, v3, vcc_lo
	.loc	1 45 20 is_stmt 1               ; attention_fwd.py:45:20
	global_load_u16 v10, v[89:90], off
.LBB0_140:
	;; [unrolled: 41-line block ×12, first 2 shown]
	v_cmp_ne_u32_e32 vcc_lo, 1, v39
	v_mov_b32_e32 v37, 0
	v_mov_b32_e32 v39, 0
	s_cbranch_vccnz .LBB0_182
; %bb.181:
	.loc	1 44 39                         ; attention_fwd.py:44:39
	s_mul_i32 s0, s43, s30
	.loc	1 44 21 is_stmt 0               ; attention_fwd.py:44:21
	s_wait_alu depctr_sa_sdst(0)
	s_ashr_i32 s1, s0, 31
	s_wait_alu depctr_sa_sdst(0)
	s_lshl_b64 s[0:1], s[0:1], 1
	s_wait_alu depctr_sa_sdst(0)
	s_add_nc_u64 s[0:1], s[4:5], s[0:1]
	.loc	1 44 51                         ; attention_fwd.py:44:51
	s_wait_alu depctr_sa_sdst(0)
	v_add_co_u32 v89, vcc_lo, s0, v2
	s_wait_alu depctr_va_vcc(0)
	v_add_co_ci_u32_e64 v90, null, s1, v3, vcc_lo
	.loc	1 45 20 is_stmt 1               ; attention_fwd.py:45:20
	global_load_u16 v39, v[89:90], off
.LBB0_182:
	v_cmp_ne_u32_e32 vcc_lo, 1, v82
	s_cbranch_vccnz .LBB0_184
; %bb.183:
	.loc	1 44 39                         ; attention_fwd.py:44:39
	s_mul_i32 s0, s43, s31
	.loc	1 44 21 is_stmt 0               ; attention_fwd.py:44:21
	s_wait_alu depctr_sa_sdst(0)
	s_ashr_i32 s1, s0, 31
	s_wait_alu depctr_sa_sdst(0)
	s_lshl_b64 s[0:1], s[0:1], 1
	s_wait_alu depctr_sa_sdst(0)
	s_add_nc_u64 s[0:1], s[4:5], s[0:1]
	.loc	1 44 51                         ; attention_fwd.py:44:51
	s_wait_alu depctr_sa_sdst(0)
	v_add_co_u32 v89, vcc_lo, s0, v2
	s_wait_alu depctr_va_vcc(0)
	v_add_co_ci_u32_e64 v90, null, s1, v3, vcc_lo
	.loc	1 45 20 is_stmt 1               ; attention_fwd.py:45:20
	global_load_u16 v37, v[89:90], off
.LBB0_184:
	v_cmp_ne_u32_e32 vcc_lo, 1, v83
	v_dual_mov_b32 v82, 0 :: v_dual_mov_b32 v83, 0
	s_cbranch_vccnz .LBB0_186
; %bb.185:
	.loc	1 44 39                         ; attention_fwd.py:44:39
	s_mul_i32 s0, s43, s33
	.loc	1 44 21 is_stmt 0               ; attention_fwd.py:44:21
	s_wait_alu depctr_sa_sdst(0)
	s_ashr_i32 s1, s0, 31
	s_wait_alu depctr_sa_sdst(0)
	s_lshl_b64 s[0:1], s[0:1], 1
	s_wait_alu depctr_sa_sdst(0)
	s_add_nc_u64 s[0:1], s[4:5], s[0:1]
	.loc	1 44 51                         ; attention_fwd.py:44:51
	s_wait_alu depctr_sa_sdst(0)
	v_add_co_u32 v89, vcc_lo, s0, v2
	s_wait_alu depctr_va_vcc(0)
	v_add_co_ci_u32_e64 v90, null, s1, v3, vcc_lo
	.loc	1 45 20 is_stmt 1               ; attention_fwd.py:45:20
	global_load_u16 v83, v[89:90], off
.LBB0_186:
	v_cmp_ne_u32_e32 vcc_lo, 1, v84
	s_cbranch_vccnz .LBB0_188
; %bb.187:
	.loc	1 44 39                         ; attention_fwd.py:44:39
	s_mul_i32 s0, s43, s36
	.loc	1 44 21 is_stmt 0               ; attention_fwd.py:44:21
	s_wait_alu depctr_sa_sdst(0)
	s_ashr_i32 s1, s0, 31
	s_wait_alu depctr_sa_sdst(0)
	s_lshl_b64 s[0:1], s[0:1], 1
	s_wait_alu depctr_sa_sdst(0)
	s_add_nc_u64 s[0:1], s[4:5], s[0:1]
	.loc	1 44 51                         ; attention_fwd.py:44:51
	s_wait_alu depctr_sa_sdst(0)
	v_add_co_u32 v89, vcc_lo, s0, v2
	s_wait_alu depctr_va_vcc(0)
	v_add_co_ci_u32_e64 v90, null, s1, v3, vcc_lo
	.loc	1 45 20 is_stmt 1               ; attention_fwd.py:45:20
	global_load_u16 v82, v[89:90], off
.LBB0_188:
	v_cmp_ne_u32_e32 vcc_lo, 1, v85
	v_dual_mov_b32 v84, 0 :: v_dual_mov_b32 v85, 0
	s_cbranch_vccnz .LBB0_190
; %bb.189:
	.loc	1 44 39                         ; attention_fwd.py:44:39
	s_mul_i32 s0, s43, s37
	.loc	1 44 21 is_stmt 0               ; attention_fwd.py:44:21
	s_wait_alu depctr_sa_sdst(0)
	s_ashr_i32 s1, s0, 31
	s_wait_alu depctr_sa_sdst(0)
	s_lshl_b64 s[0:1], s[0:1], 1
	s_wait_alu depctr_sa_sdst(0)
	s_add_nc_u64 s[0:1], s[4:5], s[0:1]
	.loc	1 44 51                         ; attention_fwd.py:44:51
	s_wait_alu depctr_sa_sdst(0)
	v_add_co_u32 v89, vcc_lo, s0, v2
	s_wait_alu depctr_va_vcc(0)
	v_add_co_ci_u32_e64 v90, null, s1, v3, vcc_lo
	.loc	1 45 20 is_stmt 1               ; attention_fwd.py:45:20
	global_load_u16 v85, v[89:90], off
.LBB0_190:
	v_cmp_ne_u32_e32 vcc_lo, 1, v86
	s_cbranch_vccnz .LBB0_192
; %bb.191:
	.loc	1 44 39                         ; attention_fwd.py:44:39
	s_mul_i32 s0, s43, s38
	.loc	1 44 21 is_stmt 0               ; attention_fwd.py:44:21
	s_wait_alu depctr_sa_sdst(0)
	s_ashr_i32 s1, s0, 31
	s_wait_alu depctr_sa_sdst(0)
	s_lshl_b64 s[0:1], s[0:1], 1
	s_wait_alu depctr_sa_sdst(0)
	s_add_nc_u64 s[0:1], s[4:5], s[0:1]
	.loc	1 44 51                         ; attention_fwd.py:44:51
	s_wait_alu depctr_sa_sdst(0)
	v_add_co_u32 v89, vcc_lo, s0, v2
	s_wait_alu depctr_va_vcc(0)
	v_add_co_ci_u32_e64 v90, null, s1, v3, vcc_lo
	.loc	1 45 20 is_stmt 1               ; attention_fwd.py:45:20
	global_load_u16 v84, v[89:90], off
.LBB0_192:
	v_lshlrev_b32_e32 v4, 1, v4
	s_load_b96 s[36:38], s[48:49], 0x18
	s_wait_loadcnt_dscnt 0x0
	s_barrier_signal -1
	.loc	1 17 46                         ; attention_fwd.py:17:46
	v_lshrrev_b32_e32 v101, 1, v5
	.loc	1 45 20                         ; attention_fwd.py:45:20
	v_and_b32_e32 v4, 0xfe, v4
	v_lshl_add_u32 v106, v5, 6, 0
	.loc	1 31 32                         ; attention_fwd.py:31:32
	s_sub_co_i32 s42, s34, 64
	.loc	1 45 20                         ; attention_fwd.py:45:20
	s_mov_b32 s41, 0
	.loc	1 31 32                         ; attention_fwd.py:31:32
	s_wait_alu depctr_sa_sdst(0)
	s_cmp_lt_i32 s42, 1
	.loc	1 45 20                         ; attention_fwd.py:45:20
	v_add_nc_u32_e32 v108, 0, v4
	v_or_b32_e32 v4, v7, v6
	s_delay_alu instid0(VALU_DEP_1)
	v_xor_b32_e32 v107, v4, v5
	s_barrier_wait -1
	global_inv scope:SCOPE_SE
	ds_store_b16 v108, v88
	ds_store_b16 v108, v87 offset:256
	ds_store_b16 v108, v9 offset:512
	;; [unrolled: 1-line block ×31, first 2 shown]
	.loc	1 31 32                         ; attention_fwd.py:31:32
	s_cbranch_scc1 .LBB0_324
; %bb.193:                              ; %.lr.ph
                                        ; implicit-def: $vgpr230 : SGPR spill to VGPR lane
	s_or_b32 s0, s40, 0x7e
	v_writelane_b32 v230, s48, 0
	s_wait_alu depctr_sa_sdst(0)
	s_mul_i32 s1, s43, s0
	s_mul_i32 s0, s16, s0
                                        ; implicit-def: $vgpr229 : SGPR spill to VGPR lane
	v_add_co_u32 v110, vcc_lo, s2, v0
	v_writelane_b32 v230, s49, 1
	s_wait_alu depctr_va_vcc(0)
	v_add_co_ci_u32_e64 v111, null, s3, v1, vcc_lo
	v_add_co_u32 v112, vcc_lo, s4, v2
	v_writelane_b32 v230, s46, 2
	s_wait_alu depctr_va_vcc(0)
	v_add_co_ci_u32_e64 v113, null, s5, v3, vcc_lo
	v_xor_b32_e32 v1, 32, v107
	v_xor_b32_e32 v2, 64, v107
	s_wait_alu depctr_sa_sdst(0)
	v_writelane_b32 v230, s1, 3
	v_xor_b32_e32 v3, 0x60, v107
	v_dual_mov_b32 v0, 0 :: v_dual_mov_b32 v37, 0xff800000
	v_lshl_add_u32 v114, v100, 1, v106
	v_writelane_b32 v230, s0, 4
	s_or_b32 s0, s40, 0x7c
	v_add_nc_u32_e32 v115, 0, v1
	s_wait_alu depctr_sa_sdst(0)
	s_mul_i32 s1, s43, s0
	s_mul_i32 s0, s16, s0
	s_wait_alu depctr_sa_sdst(0)
	v_writelane_b32 v230, s1, 5
	s_or_b32 s1, s40, 0x7a
	v_dual_mov_b32 v1, v0 :: v_dual_add_nc_u32 v116, 0, v2
	v_dual_mov_b32 v4, v0 :: v_dual_add_nc_u32 v117, 0, v3
	v_writelane_b32 v230, s0, 6
	s_wait_alu depctr_sa_sdst(0)
	s_mul_i32 s0, s43, s1
	s_mul_i32 s1, s16, s1
	v_dual_mov_b32 v2, v0 :: v_dual_mov_b32 v3, v0
	v_mov_b32_e32 v6, v0
	s_wait_alu depctr_sa_sdst(0)
	v_writelane_b32 v230, s0, 7
	s_or_b32 s0, s40, 0x78
	v_dual_mov_b32 v5, v0 :: v_dual_mov_b32 v8, v0
	v_dual_mov_b32 v7, v0 :: v_dual_mov_b32 v10, v0
	v_writelane_b32 v230, s1, 8
	s_wait_alu depctr_sa_sdst(0)
	s_mul_i32 s1, s43, s0
	s_mul_i32 s0, s16, s0
	v_dual_mov_b32 v9, v0 :: v_dual_mov_b32 v12, v0
	s_wait_alu depctr_sa_sdst(0)
	v_writelane_b32 v230, s1, 9
	s_or_b32 s1, s40, 0x76
	v_dual_mov_b32 v11, v0 :: v_dual_mov_b32 v14, v0
	v_dual_mov_b32 v13, v0 :: v_dual_mov_b32 v16, v0
	v_writelane_b32 v230, s0, 10
	s_wait_alu depctr_sa_sdst(0)
	s_mul_i32 s0, s43, s1
	s_mul_i32 s1, s16, s1
	v_dual_mov_b32 v15, v0 :: v_dual_mov_b32 v18, v0
	;; [unrolled: 10-line block ×4, first 2 shown]
	s_wait_alu depctr_sa_sdst(0)
	v_writelane_b32 v230, s0, 15
	s_or_b32 s0, s40, 0x70
	v_mov_b32_e32 v29, v0
	v_mov_b32_e32 v31, v0
	;; [unrolled: 1-line block ×3, first 2 shown]
	v_writelane_b32 v230, s1, 16
	s_wait_alu depctr_sa_sdst(0)
	s_mul_i32 s1, s43, s0
	s_mul_i32 s0, s16, s0
	s_lshl_b32 s44, s43, 6
	s_lshl_b32 s46, s16, 6
	s_wait_alu depctr_sa_sdst(0)
	v_writelane_b32 v230, s1, 17
	s_or_b32 s1, s40, 0x6e
	s_mov_b32 s45, 0
	s_mov_b32 s47, 0
	v_writelane_b32 v230, s0, 18
	s_wait_alu depctr_sa_sdst(0)
	s_mul_i32 s0, s43, s1
	s_mul_i32 s1, s16, s1
	s_wait_alu depctr_sa_sdst(0)
	v_writelane_b32 v230, s0, 19
	s_or_b32 s0, s40, 0x6c
	v_writelane_b32 v230, s1, 20
	s_wait_alu depctr_sa_sdst(0)
	s_mul_i32 s1, s43, s0
	s_mul_i32 s0, s16, s0
	s_wait_alu depctr_sa_sdst(0)
	v_writelane_b32 v230, s1, 21
	s_or_b32 s1, s40, 0x6a
	;; [unrolled: 7-line block ×6, first 2 shown]
	v_writelane_b32 v230, s0, 30
	s_wait_alu depctr_sa_sdst(0)
	s_mul_i32 s0, s43, s1
	s_mul_i32 s1, s16, s1
	s_wait_alu depctr_sa_sdst(0)
	v_writelane_b32 v229, s1, 0
	v_writelane_b32 v230, s0, 31
	s_or_b32 s0, s40, 0x60
	s_wait_alu depctr_sa_sdst(0)
	s_mul_i32 s1, s43, s0
	s_mul_i32 s0, s16, s0
	s_wait_alu depctr_sa_sdst(0)
	v_writelane_b32 v229, s1, 1
	s_or_b32 s1, s40, 0x5e
	v_writelane_b32 v229, s0, 2
	s_wait_alu depctr_sa_sdst(0)
	s_mul_i32 s0, s43, s1
	s_mul_i32 s1, s16, s1
	s_wait_alu depctr_sa_sdst(0)
	v_writelane_b32 v229, s0, 3
	s_or_b32 s0, s40, 0x5c
	s_wait_alu depctr_sa_sdst(0)
	s_mul_i32 s80, s16, s0
	v_writelane_b32 v229, s1, 4
	s_mul_i32 s1, s43, s0
	s_or_b32 s0, s40, 0x58
	s_wait_alu depctr_sa_sdst(0)
	s_mul_i32 s83, s43, s0
	v_writelane_b32 v229, s1, 5
	s_or_b32 s1, s40, 0x5a
	s_mul_i32 s84, s16, s0
	s_wait_alu depctr_sa_sdst(0)
	s_mul_i32 s81, s43, s1
	s_mul_i32 s82, s16, s1
	s_or_b32 s1, s40, 0x56
	s_or_b32 s0, s40, 0x54
	s_wait_alu depctr_sa_sdst(0)
	s_mul_i32 s85, s43, s1
	s_mul_i32 s86, s16, s1
	s_mul_i32 s87, s43, s0
	s_or_b32 s1, s40, 0x52
	s_mul_i32 s88, s16, s0
	s_or_b32 s0, s40, 0x50
	s_wait_alu depctr_sa_sdst(0)
	s_mul_i32 s89, s43, s1
	s_mul_i32 s90, s16, s1
	s_mul_i32 s91, s43, s0
	s_or_b32 s1, s40, 0x4e
	s_mul_i32 s92, s16, s0
	s_or_b32 s0, s40, 0x4c
	s_wait_alu depctr_sa_sdst(0)
	s_mul_i32 s93, s43, s1
	s_mul_i32 s94, s16, s1
	s_mul_i32 s95, s43, s0
	s_or_b32 s1, s40, 0x4a
	s_mul_i32 s96, s16, s0
	s_or_b32 s0, s40, 0x48
	s_wait_alu depctr_sa_sdst(0)
	s_mul_i32 s97, s43, s1
	s_mul_i32 s98, s16, s1
	s_mul_i32 s99, s43, s0
	s_or_b32 s1, s40, 0x46
	s_mul_i32 s100, s16, s0
	s_or_b32 s0, s40, 0x44
	s_wait_alu depctr_sa_sdst(0)
	s_mul_i32 s101, s43, s1
	s_mul_i32 s102, s16, s1
	s_mul_i32 s103, s43, s0
	s_or_b32 s1, s40, 0x42
	s_mul_i32 s104, s16, s0
	s_or_b32 s0, s40, 64
	s_wait_alu depctr_sa_sdst(0)
	s_mul_i32 vcc_hi, s43, s1
	s_mul_i32 s39, s16, s1
	s_mul_i32 s43, s43, s0
	;; [unrolled: 1-line block ×3, first 2 shown]
	s_mov_b32 s0, 0x76543210
	s_branch .LBB0_195
.LBB0_194:                              ;   in Loop: Header=BB0_195 Depth=1
	.loc	1 41 29                         ; attention_fwd.py:41:29
	v_dual_sub_f32 v34, v37, v118 :: v_dual_add_f32 v109, v32, v33
	.loc	1 45 20                         ; attention_fwd.py:45:20
	ds_load_u16 v36, v114
	ds_load_u16 v37, v114 offset:256
	ds_load_u16 v38, v114 offset:512
	.loc	1 46 27                         ; attention_fwd.py:46:27
	v_cvt_f16_f32_e64 v152, v152
	v_cvt_f16_f32_e64 v227, v153
	.loc	1 41 23                         ; attention_fwd.py:41:23
	v_mul_f32_e32 v35, 0x3fb8aa3b, v34
	.loc	1 46 27                         ; attention_fwd.py:46:27
	v_cvt_f16_f32_e64 v153, v154
	v_cvt_f16_f32_e64 v228, v155
	;; [unrolled: 1-line block ×4, first 2 shown]
	.loc	1 41 23                         ; attention_fwd.py:41:23
	v_cmp_gt_f32_e32 vcc_lo, 0xc2fc0000, v35
	.loc	1 46 27                         ; attention_fwd.py:46:27
	v_cvt_f16_f32_e64 v155, v158
	v_cvt_f16_f32_e64 v157, v159
	;; [unrolled: 1-line block ×4, first 2 shown]
	.loc	1 41 23                         ; attention_fwd.py:41:23
	s_wait_alu depctr_va_vcc(0)
	v_cndmask_b32_e64 v35, 0, 0x42800000, vcc_lo
	.loc	1 46 27                         ; attention_fwd.py:46:27
	v_cvt_f16_f32_e64 v160, v162
	v_cvt_f16_f32_e64 v161, v163
	;; [unrolled: 1-line block ×4, first 2 shown]
	.loc	1 41 23                         ; attention_fwd.py:41:23
	v_fmac_f32_e32 v35, 0x3fb8aa3b, v34
	.loc	1 46 27                         ; attention_fwd.py:46:27
	v_cvt_f16_f32_e64 v164, v166
	v_cvt_f16_f32_e64 v165, v167
	.loc	1 46 37 is_stmt 0               ; attention_fwd.py:46:37
	v_pack_b32_f16 v155, v155, v157
	v_pack_b32_f16 v154, v154, v156
	.loc	1 41 23 is_stmt 1               ; attention_fwd.py:41:23
	v_exp_f32_e32 v34, v35
	v_cndmask_b32_e64 v35, 0, 0xffffffc0, vcc_lo
	.loc	1 46 37                         ; attention_fwd.py:46:37
	v_pack_b32_f16 v153, v153, v228
	v_pack_b32_f16 v152, v152, v227
	.loc	1 46 27 is_stmt 0               ; attention_fwd.py:46:27
	v_cvt_f16_f32_e64 v166, v168
	v_cvt_f16_f32_e64 v167, v169
	;; [unrolled: 1-line block ×6, first 2 shown]
	.loc	1 41 23 is_stmt 1               ; attention_fwd.py:41:23
	v_ldexp_f32 v32, v34, v35
	.loc	1 46 27                         ; attention_fwd.py:46:27
	v_cvt_f16_f32_e64 v170, v174
	v_cvt_f16_f32_e64 v171, v175
	.loc	1 31 32                         ; attention_fwd.py:31:32
	s_add_co_i32 s47, s47, 64
	s_add_co_i32 s45, s45, s44
	.loc	1 42 28                         ; attention_fwd.py:42:28
	v_fmac_f32_e32 v109, v39, v32
	.loc	1 45 20                         ; attention_fwd.py:45:20
	ds_load_u16 v39, v114 offset:768
	.loc	1 43 20                         ; attention_fwd.py:43:20
	v_mul_f32_e32 v0, v0, v32
	v_mul_f32_e32 v1, v1, v32
	;; [unrolled: 1-line block ×32, first 2 shown]
	.loc	1 45 20                         ; attention_fwd.py:45:20
	ds_load_u16 v40, v114 offset:32
	s_wait_dscnt 0x4
	ds_load_u16_d16_hi v36, v114 offset:128
	s_wait_dscnt 0x4
	ds_load_u16_d16_hi v37, v114 offset:384
	;; [unrolled: 2-line block ×3, first 2 shown]
	ds_load_u16 v56, v114 offset:2048
	ds_load_u16 v57, v114 offset:2304
	;; [unrolled: 1-line block ×12, first 2 shown]
	s_wait_dscnt 0x10
	ds_load_u16_d16_hi v39, v114 offset:896
	ds_load_u16 v41, v114 offset:288
	ds_load_u16 v42, v114 offset:544
	;; [unrolled: 1-line block ×7, first 2 shown]
	s_wait_dscnt 0x13
	ds_load_u16_d16_hi v56, v114 offset:2176
	s_wait_dscnt 0x13
	ds_load_u16_d16_hi v57, v114 offset:2432
	;; [unrolled: 2-line block ×12, first 2 shown]
	ds_load_u16_d16_hi v40, v114 offset:160
	s_wait_dscnt 0x13
	ds_load_u16_d16_hi v41, v114 offset:416
	s_wait_dscnt 0x13
	;; [unrolled: 2-line block ×7, first 2 shown]
	ds_load_u16_d16_hi v55, v114 offset:2976
	ds_load_u16 v60, v114 offset:4128
	ds_load_u16 v61, v114 offset:4384
	;; [unrolled: 1-line block ×20, first 2 shown]
	s_wait_dscnt 0x13
	ds_load_u16_d16_hi v60, v114 offset:4256
	s_wait_dscnt 0x13
	ds_load_u16_d16_hi v61, v114 offset:4512
	s_wait_dscnt 0x13
	ds_load_u16_d16_hi v62, v114 offset:4768
	s_wait_dscnt 0x13
	ds_load_u16_d16_hi v63, v114 offset:5024
	s_wait_dscnt 0x13
	ds_load_u16_d16_hi v44, v114 offset:6304
	s_wait_dscnt 0x13
	ds_load_u16_d16_hi v45, v114 offset:6560
	s_wait_dscnt 0x13
	ds_load_u16_d16_hi v46, v114 offset:6816
	s_wait_dscnt 0x13
	ds_load_u16_d16_hi v47, v114 offset:7072
	s_wait_dscnt 0x13
	ds_load_u16_d16_hi v92, v114 offset:192
	s_wait_dscnt 0x13
	ds_load_u16_d16_hi v93, v114 offset:448
	s_wait_dscnt 0x13
	ds_load_u16_d16_hi v94, v114 offset:704
	s_wait_dscnt 0x13
	ds_load_u16_d16_hi v95, v114 offset:960
	s_wait_dscnt 0x13
	ds_load_u16_d16_hi v88, v114 offset:2240
	s_wait_dscnt 0x13
	ds_load_u16_d16_hi v89, v114 offset:2496
	s_wait_dscnt 0x13
	ds_load_u16_d16_hi v90, v114 offset:2752
	s_wait_dscnt 0x13
	ds_load_u16_d16_hi v91, v114 offset:3008
	s_wait_dscnt 0x13
	ds_load_u16_d16_hi v84, v114 offset:4288
	s_wait_dscnt 0x13
	ds_load_u16_d16_hi v85, v114 offset:4544
	s_wait_dscnt 0x13
	ds_load_u16_d16_hi v86, v114 offset:4800
	s_wait_dscnt 0x13
	ds_load_u16_d16_hi v87, v114 offset:5056
	ds_load_u16 v80, v114 offset:6208
	ds_load_u16 v81, v114 offset:6464
	;; [unrolled: 1-line block ×20, first 2 shown]
	s_wait_dscnt 0x13
	ds_load_u16_d16_hi v80, v114 offset:6336
	s_wait_dscnt 0x13
	ds_load_u16_d16_hi v81, v114 offset:6592
	;; [unrolled: 2-line block ×20, first 2 shown]
	.loc	1 46 37                         ; attention_fwd.py:46:37
	v_wmma_f32_16x16x16_f16 v[0:7], v[36:39], v[152:155], v[0:7]
	v_pack_b32_f16 v39, v164, v165
	v_pack_b32_f16 v38, v162, v163
	;; [unrolled: 1-line block ×4, first 2 shown]
	.loc	1 46 27 is_stmt 0               ; attention_fwd.py:46:27
	v_cvt_f16_f32_e64 v158, v176
	v_cvt_f16_f32_e64 v159, v177
	;; [unrolled: 1-line block ×4, first 2 shown]
	.loc	1 46 37                         ; attention_fwd.py:46:37
	v_wmma_f32_16x16x16_f16 v[0:7], v[56:59], v[36:39], v[0:7]
	v_pack_b32_f16 v59, v170, v171
	v_pack_b32_f16 v58, v156, v157
	;; [unrolled: 1-line block ×4, first 2 shown]
	.loc	1 46 27                         ; attention_fwd.py:46:27
	v_cvt_f16_f32_e64 v156, v180
	v_cvt_f16_f32_e64 v157, v181
	;; [unrolled: 1-line block ×4, first 2 shown]
	.loc	1 46 37                         ; attention_fwd.py:46:37
	v_wmma_f32_16x16x16_f16 v[0:7], v[48:51], v[56:59], v[0:7]
	v_mov_b32_e32 v50, v137
	v_mov_b32_e32 v48, v132
	v_wmma_f32_16x16x16_f16 v[8:15], v[40:43], v[152:155], v[8:15]
	v_mov_b32_e32 v51, v139
	v_mov_b32_e32 v49, v130
	s_wait_dscnt 0xc
	v_wmma_f32_16x16x16_f16 v[24:31], v[96:99], v[152:155], v[24:31]
	v_mov_b32_e32 v43, v131
	v_wmma_f32_16x16x16_f16 v[8:15], v[52:55], v[36:39], v[8:15]
	v_dual_mov_b32 v53, v136 :: v_dual_mov_b32 v42, v129
	v_wmma_f32_16x16x16_f16 v[16:23], v[92:95], v[152:155], v[16:23]
	s_wait_dscnt 0x8
	v_wmma_f32_16x16x16_f16 v[24:31], v[215:218], v[36:39], v[24:31]
	v_pack_b32_f16 v41, v162, v163
	v_pack_b32_f16 v40, v156, v157
	v_wmma_f32_16x16x16_f16 v[8:15], v[60:63], v[56:59], v[8:15]
	v_wmma_f32_16x16x16_f16 v[16:23], v[88:91], v[36:39], v[16:23]
	v_pack_b32_f16 v39, v160, v161
	v_pack_b32_f16 v38, v158, v159
	s_wait_dscnt 0x4
	v_wmma_f32_16x16x16_f16 v[24:31], v[219:222], v[56:59], v[24:31]
	v_mov_b32_e32 v63, v150
	v_wmma_f32_16x16x16_f16 v[16:23], v[84:87], v[56:59], v[16:23]
	v_mov_b32_e32 v62, v149
	v_wmma_f32_16x16x16_f16 v[0:7], v[32:35], v[38:41], v[0:7]
	v_wmma_f32_16x16x16_f16 v[8:15], v[44:47], v[38:41], v[8:15]
	s_wait_dscnt 0x0
	v_wmma_f32_16x16x16_f16 v[24:31], v[223:226], v[38:41], v[24:31]
	v_wmma_f32_16x16x16_f16 v[16:23], v[80:83], v[38:41], v[16:23]
	v_dual_mov_b32 v81, v148 :: v_dual_mov_b32 v80, v146
	v_mov_b32_e32 v59, v147
	v_dual_mov_b32 v61, v144 :: v_dual_mov_b32 v58, v145
	v_dual_mov_b32 v60, v142 :: v_dual_mov_b32 v55, v143
	;; [unrolled: 1-line block ×3, first 2 shown]
	v_mov_b32_e32 v56, v138
	v_mov_b32_e32 v52, v134
	v_dual_mov_b32 v46, v135 :: v_dual_mov_b32 v47, v133
	v_dual_mov_b32 v45, v128 :: v_dual_mov_b32 v44, v126
	;; [unrolled: 1-line block ×3, first 2 shown]
	v_mov_b32_e32 v36, v125
	v_dual_mov_b32 v40, v122 :: v_dual_mov_b32 v33, v123
	v_dual_mov_b32 v35, v120 :: v_dual_mov_b32 v32, v121
	;; [unrolled: 1-line block ×3, first 2 shown]
	v_mov_b32_e32 v37, v118
	.loc	1 31 32 is_stmt 1               ; attention_fwd.py:31:32
	s_add_co_i32 s41, s41, s46
	s_wait_alu depctr_sa_sdst(0)
	s_cmp_lt_i32 s47, s42
	.loc	1 45 20                         ; attention_fwd.py:45:20
	s_wait_loadcnt 0x0
	s_barrier_signal -1
	s_barrier_wait -1
	global_inv scope:SCOPE_SE
	ds_store_b16 v108, v151
	ds_store_b16 v108, v185 offset:256
	ds_store_b16 v108, v184 offset:512
	;; [unrolled: 1-line block ×31, first 2 shown]
	.loc	1 31 32                         ; attention_fwd.py:31:32
	s_cbranch_scc0 .LBB0_323
.LBB0_195:                              ; =>This Inner Loop Header: Depth=1
	.loc	1 32 27                         ; attention_fwd.py:32:27
	s_add_co_i32 s2, s40, s47
	v_mov_b32_e32 v119, 0
	s_wait_alu depctr_sa_sdst(0)
	s_add_co_i32 s3, s2, 64
	.loc	1 34 51                         ; attention_fwd.py:34:51
	s_wait_alu depctr_sa_sdst(0)
	s_cmp_lt_i32 s3, s34
	s_cselect_b32 s49, -1, 0
	s_cmp_ge_i32 s3, s34
	.loc	1 34 20 is_stmt 0               ; attention_fwd.py:34:20
	s_cbranch_scc1 .LBB0_197
; %bb.196:                              ;   in Loop: Header=BB0_195 Depth=1
	.loc	1 0 20                          ; attention_fwd.py:0:20
	s_add_co_i32 s4, s1, s41
	s_wait_alu depctr_sa_sdst(0)
	s_ashr_i32 s5, s4, 31
	s_wait_alu depctr_sa_sdst(0)
	s_lshl_b64 s[4:5], s[4:5], 1
	s_wait_alu depctr_sa_sdst(0)
	v_add_co_u32 v82, vcc_lo, v110, s4
	s_wait_alu depctr_va_vcc(0)
	v_add_co_ci_u32_e64 v83, null, s5, v111, vcc_lo
	.loc	1 34 20                         ; attention_fwd.py:34:20
	global_load_u16 v119, v[82:83], off
.LBB0_197:                              ;   in Loop: Header=BB0_195 Depth=1
	.loc	1 32 27 is_stmt 1               ; attention_fwd.py:32:27
	s_add_co_i32 s3, s2, 0x42
	v_dual_mov_b32 v120, 0 :: v_dual_mov_b32 v121, 0
	.loc	1 34 51                         ; attention_fwd.py:34:51
	s_wait_alu depctr_sa_sdst(0)
	s_cmp_lt_i32 s3, s34
	s_cselect_b32 s48, -1, 0
	s_cmp_ge_i32 s3, s34
	.loc	1 34 20 is_stmt 0               ; attention_fwd.py:34:20
	s_cbranch_scc1 .LBB0_199
; %bb.198:                              ;   in Loop: Header=BB0_195 Depth=1
	.loc	1 33 39 is_stmt 1               ; attention_fwd.py:33:39
	s_add_co_i32 s4, s39, s41
	.loc	1 33 21 is_stmt 0               ; attention_fwd.py:33:21
	s_wait_alu depctr_sa_sdst(0)
	s_ashr_i32 s5, s4, 31
	.loc	1 33 51                         ; attention_fwd.py:33:51
	s_wait_alu depctr_sa_sdst(0)
	s_lshl_b64 s[4:5], s[4:5], 1
	s_wait_alu depctr_sa_sdst(0)
	v_add_co_u32 v82, vcc_lo, v110, s4
	s_wait_alu depctr_va_vcc(0)
	v_add_co_ci_u32_e64 v83, null, s5, v111, vcc_lo
	.loc	1 34 20 is_stmt 1               ; attention_fwd.py:34:20
	global_load_u16 v121, v[82:83], off
.LBB0_199:                              ;   in Loop: Header=BB0_195 Depth=1
	.loc	1 32 27                         ; attention_fwd.py:32:27
	s_add_co_i32 s3, s2, 0x44
	.loc	1 34 51                         ; attention_fwd.py:34:51
	s_wait_alu depctr_sa_sdst(0)
	s_cmp_lt_i32 s3, s34
	s_cselect_b32 s50, -1, 0
	s_cmp_ge_i32 s3, s34
	.loc	1 34 20 is_stmt 0               ; attention_fwd.py:34:20
	s_cbranch_scc1 .LBB0_201
; %bb.200:                              ;   in Loop: Header=BB0_195 Depth=1
	.loc	1 33 39 is_stmt 1               ; attention_fwd.py:33:39
	s_add_co_i32 s4, s104, s41
	.loc	1 33 21 is_stmt 0               ; attention_fwd.py:33:21
	s_wait_alu depctr_sa_sdst(0)
	s_ashr_i32 s5, s4, 31
	.loc	1 33 51                         ; attention_fwd.py:33:51
	s_wait_alu depctr_sa_sdst(0)
	s_lshl_b64 s[4:5], s[4:5], 1
	s_wait_alu depctr_sa_sdst(0)
	v_add_co_u32 v82, vcc_lo, v110, s4
	s_wait_alu depctr_va_vcc(0)
	v_add_co_ci_u32_e64 v83, null, s5, v111, vcc_lo
	.loc	1 34 20 is_stmt 1               ; attention_fwd.py:34:20
	global_load_u16 v120, v[82:83], off
.LBB0_201:                              ;   in Loop: Header=BB0_195 Depth=1
	.loc	1 32 27                         ; attention_fwd.py:32:27
	s_add_co_i32 s3, s2, 0x46
	v_dual_mov_b32 v122, 0 :: v_dual_mov_b32 v123, 0
	.loc	1 34 51                         ; attention_fwd.py:34:51
	s_wait_alu depctr_sa_sdst(0)
	s_cmp_lt_i32 s3, s34
	s_cselect_b32 s51, -1, 0
	s_cmp_ge_i32 s3, s34
	.loc	1 34 20 is_stmt 0               ; attention_fwd.py:34:20
	s_cbranch_scc1 .LBB0_203
; %bb.202:                              ;   in Loop: Header=BB0_195 Depth=1
	.loc	1 33 39 is_stmt 1               ; attention_fwd.py:33:39
	s_add_co_i32 s4, s102, s41
	.loc	1 33 21 is_stmt 0               ; attention_fwd.py:33:21
	s_wait_alu depctr_sa_sdst(0)
	s_ashr_i32 s5, s4, 31
	.loc	1 33 51                         ; attention_fwd.py:33:51
	s_wait_alu depctr_sa_sdst(0)
	s_lshl_b64 s[4:5], s[4:5], 1
	s_wait_alu depctr_sa_sdst(0)
	v_add_co_u32 v82, vcc_lo, v110, s4
	s_wait_alu depctr_va_vcc(0)
	v_add_co_ci_u32_e64 v83, null, s5, v111, vcc_lo
	.loc	1 34 20 is_stmt 1               ; attention_fwd.py:34:20
	global_load_u16 v123, v[82:83], off
.LBB0_203:                              ;   in Loop: Header=BB0_195 Depth=1
	.loc	1 32 27                         ; attention_fwd.py:32:27
	s_add_co_i32 s3, s2, 0x48
	.loc	1 34 51                         ; attention_fwd.py:34:51
	s_wait_alu depctr_sa_sdst(0)
	s_cmp_lt_i32 s3, s34
	s_cselect_b32 s52, -1, 0
	s_cmp_ge_i32 s3, s34
	.loc	1 34 20 is_stmt 0               ; attention_fwd.py:34:20
	s_cbranch_scc1 .LBB0_205
; %bb.204:                              ;   in Loop: Header=BB0_195 Depth=1
	.loc	1 33 39 is_stmt 1               ; attention_fwd.py:33:39
	s_add_co_i32 s4, s100, s41
	.loc	1 33 21 is_stmt 0               ; attention_fwd.py:33:21
	s_wait_alu depctr_sa_sdst(0)
	s_ashr_i32 s5, s4, 31
	.loc	1 33 51                         ; attention_fwd.py:33:51
	s_wait_alu depctr_sa_sdst(0)
	s_lshl_b64 s[4:5], s[4:5], 1
	s_wait_alu depctr_sa_sdst(0)
	v_add_co_u32 v82, vcc_lo, v110, s4
	s_wait_alu depctr_va_vcc(0)
	v_add_co_ci_u32_e64 v83, null, s5, v111, vcc_lo
	.loc	1 34 20 is_stmt 1               ; attention_fwd.py:34:20
	global_load_u16 v122, v[82:83], off
.LBB0_205:                              ;   in Loop: Header=BB0_195 Depth=1
	.loc	1 32 27                         ; attention_fwd.py:32:27
	;; [unrolled: 51-line block ×7, first 2 shown]
	s_add_co_i32 s3, s2, 0x5e
	v_dual_mov_b32 v134, 0 :: v_dual_mov_b32 v135, 0
	.loc	1 34 51                         ; attention_fwd.py:34:51
	s_wait_alu depctr_sa_sdst(0)
	s_cmp_lt_i32 s3, s34
	s_cselect_b32 s63, -1, 0
	s_cmp_ge_i32 s3, s34
	.loc	1 34 20 is_stmt 0               ; attention_fwd.py:34:20
	s_cbranch_scc1 .LBB0_227
; %bb.226:                              ;   in Loop: Header=BB0_195 Depth=1
	.loc	1 33 39 is_stmt 1               ; attention_fwd.py:33:39
	v_readlane_b32 s3, v229, 4
	s_add_co_i32 s4, s3, s41
	.loc	1 33 21 is_stmt 0               ; attention_fwd.py:33:21
	s_wait_alu depctr_sa_sdst(0)
	s_ashr_i32 s5, s4, 31
	.loc	1 33 51                         ; attention_fwd.py:33:51
	s_wait_alu depctr_sa_sdst(0)
	s_lshl_b64 s[4:5], s[4:5], 1
	s_wait_alu depctr_sa_sdst(0)
	v_add_co_u32 v82, vcc_lo, v110, s4
	s_wait_alu depctr_va_vcc(0)
	v_add_co_ci_u32_e64 v83, null, s5, v111, vcc_lo
	.loc	1 34 20 is_stmt 1               ; attention_fwd.py:34:20
	global_load_u16 v135, v[82:83], off
.LBB0_227:                              ;   in Loop: Header=BB0_195 Depth=1
	.loc	1 32 27                         ; attention_fwd.py:32:27
	s_add_co_i32 s3, s2, 0x60
	.loc	1 34 51                         ; attention_fwd.py:34:51
	s_wait_alu depctr_sa_sdst(0)
	s_cmp_lt_i32 s3, s34
	s_cselect_b32 s64, -1, 0
	s_cmp_ge_i32 s3, s34
	.loc	1 34 20 is_stmt 0               ; attention_fwd.py:34:20
	s_cbranch_scc1 .LBB0_229
; %bb.228:                              ;   in Loop: Header=BB0_195 Depth=1
	.loc	1 33 39 is_stmt 1               ; attention_fwd.py:33:39
	v_readlane_b32 s3, v229, 2
	s_add_co_i32 s4, s3, s41
	.loc	1 33 21 is_stmt 0               ; attention_fwd.py:33:21
	s_wait_alu depctr_sa_sdst(0)
	s_ashr_i32 s5, s4, 31
	.loc	1 33 51                         ; attention_fwd.py:33:51
	s_wait_alu depctr_sa_sdst(0)
	s_lshl_b64 s[4:5], s[4:5], 1
	s_wait_alu depctr_sa_sdst(0)
	v_add_co_u32 v82, vcc_lo, v110, s4
	s_wait_alu depctr_va_vcc(0)
	v_add_co_ci_u32_e64 v83, null, s5, v111, vcc_lo
	.loc	1 34 20 is_stmt 1               ; attention_fwd.py:34:20
	global_load_u16 v134, v[82:83], off
.LBB0_229:                              ;   in Loop: Header=BB0_195 Depth=1
	.loc	1 32 27                         ; attention_fwd.py:32:27
	s_add_co_i32 s3, s2, 0x62
	v_dual_mov_b32 v136, 0 :: v_dual_mov_b32 v137, 0
	.loc	1 34 51                         ; attention_fwd.py:34:51
	s_wait_alu depctr_sa_sdst(0)
	s_cmp_lt_i32 s3, s34
	s_cselect_b32 s65, -1, 0
	s_cmp_ge_i32 s3, s34
	.loc	1 34 20 is_stmt 0               ; attention_fwd.py:34:20
	s_cbranch_scc1 .LBB0_231
; %bb.230:                              ;   in Loop: Header=BB0_195 Depth=1
	.loc	1 33 39 is_stmt 1               ; attention_fwd.py:33:39
	v_readlane_b32 s3, v229, 0
	s_add_co_i32 s4, s3, s41
	.loc	1 33 21 is_stmt 0               ; attention_fwd.py:33:21
	s_wait_alu depctr_sa_sdst(0)
	s_ashr_i32 s5, s4, 31
	.loc	1 33 51                         ; attention_fwd.py:33:51
	s_wait_alu depctr_sa_sdst(0)
	s_lshl_b64 s[4:5], s[4:5], 1
	s_wait_alu depctr_sa_sdst(0)
	v_add_co_u32 v82, vcc_lo, v110, s4
	s_wait_alu depctr_va_vcc(0)
	v_add_co_ci_u32_e64 v83, null, s5, v111, vcc_lo
	.loc	1 34 20 is_stmt 1               ; attention_fwd.py:34:20
	global_load_u16 v137, v[82:83], off
.LBB0_231:                              ;   in Loop: Header=BB0_195 Depth=1
	.loc	1 32 27                         ; attention_fwd.py:32:27
	s_add_co_i32 s3, s2, 0x64
	.loc	1 34 51                         ; attention_fwd.py:34:51
	s_wait_alu depctr_sa_sdst(0)
	s_cmp_lt_i32 s3, s34
	s_cselect_b32 s66, -1, 0
	s_cmp_ge_i32 s3, s34
	.loc	1 34 20 is_stmt 0               ; attention_fwd.py:34:20
	s_cbranch_scc1 .LBB0_233
; %bb.232:                              ;   in Loop: Header=BB0_195 Depth=1
	.loc	1 33 39 is_stmt 1               ; attention_fwd.py:33:39
	v_readlane_b32 s3, v230, 30
	s_add_co_i32 s4, s3, s41
	.loc	1 33 21 is_stmt 0               ; attention_fwd.py:33:21
	s_wait_alu depctr_sa_sdst(0)
	s_ashr_i32 s5, s4, 31
	.loc	1 33 51                         ; attention_fwd.py:33:51
	s_wait_alu depctr_sa_sdst(0)
	s_lshl_b64 s[4:5], s[4:5], 1
	s_wait_alu depctr_sa_sdst(0)
	v_add_co_u32 v82, vcc_lo, v110, s4
	s_wait_alu depctr_va_vcc(0)
	v_add_co_ci_u32_e64 v83, null, s5, v111, vcc_lo
	.loc	1 34 20 is_stmt 1               ; attention_fwd.py:34:20
	global_load_u16 v136, v[82:83], off
.LBB0_233:                              ;   in Loop: Header=BB0_195 Depth=1
	.loc	1 32 27                         ; attention_fwd.py:32:27
	;; [unrolled: 53-line block ×8, first 2 shown]
	s_addk_co_i32 s2, 0x7e
	v_dual_mov_b32 v151, 0 :: v_dual_mov_b32 v150, 0
	.loc	1 34 51                         ; attention_fwd.py:34:51
	s_wait_alu depctr_sa_sdst(0)
	s_cmp_lt_i32 s2, s34
	s_cselect_b32 s79, -1, 0
	s_cmp_ge_i32 s2, s34
	.loc	1 34 20 is_stmt 0               ; attention_fwd.py:34:20
	s_cbranch_scc1 .LBB0_259
; %bb.258:                              ;   in Loop: Header=BB0_195 Depth=1
	.loc	1 33 21 is_stmt 1               ; attention_fwd.py:33:21
	v_readlane_b32 s2, v230, 4
	s_add_co_i32 s2, s2, s41
	s_wait_alu depctr_sa_sdst(0)
	s_ashr_i32 s3, s2, 31
	.loc	1 33 51 is_stmt 0               ; attention_fwd.py:33:51
	s_wait_alu depctr_sa_sdst(0)
	s_lshl_b64 s[2:3], s[2:3], 1
	s_wait_alu depctr_sa_sdst(0)
	v_add_co_u32 v82, vcc_lo, v110, s2
	s_wait_alu depctr_va_vcc(0)
	v_add_co_ci_u32_e64 v83, null, s3, v111, vcc_lo
	.loc	1 34 20 is_stmt 1               ; attention_fwd.py:34:20
	global_load_u16 v150, v[82:83], off
.LBB0_259:                              ;   in Loop: Header=BB0_195 Depth=1
	.loc	1 35 32                         ; attention_fwd.py:35:32
	ds_store_b16 v102, v34 offset:8192
	ds_store_b16 v102, v40 offset:9216
	;; [unrolled: 1-line block ×32, first 2 shown]
	s_wait_loadcnt_dscnt 0x0
	s_barrier_signal -1
	v_add_nc_u32_e32 v36, 0, v107
	s_barrier_wait -1
	global_inv scope:SCOPE_SE
	ds_load_b128 v[32:35], v36 offset:8192
	ds_load_b128 v[48:51], v115 offset:8192
	;; [unrolled: 1-line block ×3, first 2 shown]
	.loc	1 35 23 is_stmt 0               ; attention_fwd.py:35:23
	s_wait_dscnt 0x2
	v_wmma_f32_16x16x16_f16 v[40:47], v[32:35], v[76:79], 0
	.loc	1 35 32                         ; attention_fwd.py:35:32
	ds_load_b128 v[32:35], v115 offset:10240
	.loc	1 35 23                         ; attention_fwd.py:35:23
	s_wait_dscnt 0x2
	v_wmma_f32_16x16x16_f16 v[40:47], v[48:51], v[72:75], v[40:47]
	.loc	1 35 32                         ; attention_fwd.py:35:32
	ds_load_b128 v[48:51], v116 offset:8192
	ds_load_b128 v[56:59], v116 offset:10240
	.loc	1 35 23                         ; attention_fwd.py:35:23
	s_wait_dscnt 0x1
	v_wmma_f32_16x16x16_f16 v[40:47], v[48:51], v[68:71], v[40:47]
	.loc	1 35 32                         ; attention_fwd.py:35:32
	ds_load_b128 v[48:51], v117 offset:8192
	ds_load_b128 v[60:63], v117 offset:10240
	.loc	1 35 23                         ; attention_fwd.py:35:23
	s_wait_dscnt 0x1
	v_wmma_f32_16x16x16_f16 v[40:47], v[48:51], v[64:67], v[40:47]
	.loc	1 35 38                         ; attention_fwd.py:35:38
	s_wait_kmcnt 0x0
	s_delay_alu instid0(VALU_DEP_1) | instskip(NEXT) | instid1(VALU_DEP_2)
	v_dual_mul_f32 v38, s38, v40 :: v_dual_mul_f32 v85, s38, v46
	v_dual_mul_f32 v80, s38, v41 :: v_dual_mul_f32 v83, s38, v44
	s_delay_alu instid0(VALU_DEP_3) | instskip(SKIP_3) | instid1(VALU_DEP_1)
	v_dual_mul_f32 v81, s38, v42 :: v_dual_mul_f32 v82, s38, v43
	v_mul_f32_e32 v84, s38, v45
	v_mul_f32_e32 v86, s38, v47
	.loc	1 35 23                         ; attention_fwd.py:35:23
	v_wmma_f32_16x16x16_f16 v[40:47], v[52:55], v[76:79], 0
	v_wmma_f32_16x16x16_f16 v[40:47], v[32:35], v[72:75], v[40:47]
	.loc	1 35 32                         ; attention_fwd.py:35:32
	ds_load_b128 v[32:35], v36 offset:12288
	ds_load_b128 v[48:51], v36 offset:14336
	;; [unrolled: 1-line block ×3, first 2 shown]
	.loc	1 35 23                         ; attention_fwd.py:35:23
	v_wmma_f32_16x16x16_f16 v[40:47], v[56:59], v[68:71], v[40:47]
	s_wait_dscnt 0x3
	s_delay_alu instid0(VALU_DEP_1) | instskip(NEXT) | instid1(VALU_DEP_1)
	v_wmma_f32_16x16x16_f16 v[40:47], v[60:63], v[64:67], v[40:47]
	.loc	1 35 38                         ; attention_fwd.py:35:38
	v_dual_mul_f32 v87, s38, v40 :: v_dual_mul_f32 v88, s38, v41
	s_delay_alu instid0(VALU_DEP_2) | instskip(NEXT) | instid1(VALU_DEP_3)
	v_mul_f32_e32 v93, s38, v46
	v_dual_mul_f32 v89, s38, v42 :: v_dual_mul_f32 v90, s38, v43
	s_delay_alu instid0(VALU_DEP_4)
	v_dual_mul_f32 v91, s38, v44 :: v_dual_mul_f32 v92, s38, v45
	v_mul_f32_e32 v94, s38, v47
	.loc	1 35 23                         ; attention_fwd.py:35:23
	s_wait_dscnt 0x2
	v_wmma_f32_16x16x16_f16 v[40:47], v[32:35], v[76:79], 0
	.loc	1 35 32                         ; attention_fwd.py:35:32
	ds_load_b128 v[32:35], v115 offset:14336
	.loc	1 35 23                         ; attention_fwd.py:35:23
	s_wait_dscnt 0x1
	v_wmma_f32_16x16x16_f16 v[40:47], v[52:55], v[72:75], v[40:47]
	.loc	1 35 32                         ; attention_fwd.py:35:32
	ds_load_b128 v[52:55], v116 offset:12288
	ds_load_b128 v[56:59], v116 offset:14336
	.loc	1 35 23                         ; attention_fwd.py:35:23
	s_wait_dscnt 0x1
	v_wmma_f32_16x16x16_f16 v[40:47], v[52:55], v[68:71], v[40:47]
	.loc	1 35 32                         ; attention_fwd.py:35:32
	ds_load_b128 v[52:55], v117 offset:12288
	ds_load_b128 v[60:63], v117 offset:14336
	.loc	1 35 23                         ; attention_fwd.py:35:23
	s_wait_dscnt 0x1
	v_wmma_f32_16x16x16_f16 v[40:47], v[52:55], v[64:67], v[40:47]
	s_delay_alu instid0(VALU_DEP_1) | instskip(NEXT) | instid1(VALU_DEP_2)
	.loc	1 35 38                         ; attention_fwd.py:35:38
	v_dual_mul_f32 v36, s38, v40 :: v_dual_mul_f32 v97, s38, v47
	v_dual_mul_f32 v52, s38, v41 :: v_dual_mul_f32 v53, s38, v42
	s_delay_alu instid0(VALU_DEP_3) | instskip(NEXT) | instid1(VALU_DEP_4)
	v_dual_mul_f32 v54, s38, v43 :: v_dual_mul_f32 v55, s38, v44
	v_dual_mul_f32 v95, s38, v45 :: v_dual_mul_f32 v96, s38, v46
	.loc	1 35 23                         ; attention_fwd.py:35:23
	v_wmma_f32_16x16x16_f16 v[40:47], v[48:51], v[76:79], 0
	s_delay_alu instid0(VALU_DEP_1) | instskip(NEXT) | instid1(VALU_DEP_1)
	v_wmma_f32_16x16x16_f16 v[40:47], v[32:35], v[72:75], v[40:47]
	v_wmma_f32_16x16x16_f16 v[40:47], v[56:59], v[68:71], v[40:47]
	s_wait_dscnt 0x0
	s_delay_alu instid0(VALU_DEP_1) | instskip(NEXT) | instid1(VALU_DEP_1)
	v_wmma_f32_16x16x16_f16 v[40:47], v[60:63], v[64:67], v[40:47]
	.loc	1 35 38                         ; attention_fwd.py:35:38
	v_dual_mul_f32 v32, s38, v40 :: v_dual_mul_f32 v51, s38, v46
	.loc	1 32 27 is_stmt 1               ; attention_fwd.py:32:27
	v_add_nc_u32_e32 v40, s47, v101
	s_delay_alu instid0(VALU_DEP_3) | instskip(NEXT) | instid1(VALU_DEP_4)
	.loc	1 35 38                         ; attention_fwd.py:35:38
	v_dual_mul_f32 v33, s38, v41 :: v_dual_mul_f32 v34, s38, v42
	v_mul_f32_e32 v50, s38, v45
	s_delay_alu instid0(VALU_DEP_3) | instskip(SKIP_3) | instid1(VALU_DEP_4)
	v_dual_mul_f32 v56, s38, v47 :: v_dual_add_nc_u32 v41, 1, v40
	.loc	1 36 40                         ; attention_fwd.py:36:40
	v_cmp_gt_i32_e64 s33, s34, v40
	.loc	1 35 38                         ; attention_fwd.py:35:38
	v_mul_f32_e32 v35, s38, v43
	v_mul_f32_e32 v49, s38, v44
	.loc	1 36 40                         ; attention_fwd.py:36:40
	v_cmp_gt_i32_e32 vcc_lo, s34, v41
	.loc	1 32 27                         ; attention_fwd.py:32:27
	v_add_nc_u32_e32 v41, 2, v40
	.loc	1 36 52                         ; attention_fwd.py:36:52
	s_wait_alu depctr_va_sdst(0)
	v_cndmask_b32_e64 v57, 0xff800000, v38, s33
	s_delay_alu instid0(VALU_DEP_2) | instskip(SKIP_2) | instid1(VALU_DEP_2)
	.loc	1 36 40 is_stmt 0               ; attention_fwd.py:36:40
	v_cmp_gt_i32_e64 s2, s34, v41
	.loc	1 32 27 is_stmt 1               ; attention_fwd.py:32:27
	v_add_nc_u32_e32 v41, 3, v40
	.loc	1 36 52                         ; attention_fwd.py:36:52
	s_wait_alu depctr_va_sdst(0)
	v_cndmask_b32_e64 v59, 0xff800000, v81, s2
	s_delay_alu instid0(VALU_DEP_2)
	.loc	1 36 40 is_stmt 0               ; attention_fwd.py:36:40
	v_cmp_gt_i32_e64 s3, s34, v41
	.loc	1 36 52                         ; attention_fwd.py:36:52
	s_wait_alu depctr_va_vcc(0)
	v_cndmask_b32_e32 v58, 0xff800000, v80, vcc_lo
	.loc	1 32 27 is_stmt 1               ; attention_fwd.py:32:27
	v_add_nc_u32_e32 v41, 4, v40
	.loc	1 36 52                         ; attention_fwd.py:36:52
	s_wait_alu depctr_va_sdst(0)
	v_cndmask_b32_e64 v60, 0xff800000, v82, s3
	s_delay_alu instid0(VALU_DEP_3) | instskip(NEXT) | instid1(VALU_DEP_3)
.Ltmp1:
	.file	2 "/root/.local/lib/python3.13/site-packages/triton/language" "standard.py"
	.loc	2 170 27                        ; standard.py:170:27 @[ standard.py:191:40 @[ attention_fwd.py:39:42 ] ]
	v_max_num_f32_e32 v38, v57, v58
.Ltmp2:
	.loc	1 36 40                         ; attention_fwd.py:36:40
	v_cmp_gt_i32_e64 s4, s34, v41
	.loc	1 32 27                         ; attention_fwd.py:32:27
	v_add_nc_u32_e32 v41, 5, v40
	s_delay_alu instid0(VALU_DEP_3) | instskip(SKIP_1) | instid1(VALU_DEP_3)
.Ltmp3:
	.loc	2 170 27                        ; standard.py:170:27 @[ standard.py:191:40 @[ attention_fwd.py:39:42 ] ]
	v_max3_num_f32 v38, v38, v59, v60
.Ltmp4:
	.loc	1 36 52                         ; attention_fwd.py:36:52
	s_wait_alu depctr_va_sdst(0)
	v_cndmask_b32_e64 v61, 0xff800000, v83, s4
	s_delay_alu instid0(VALU_DEP_3) | instskip(SKIP_2) | instid1(VALU_DEP_2)
	.loc	1 36 40 is_stmt 0               ; attention_fwd.py:36:40
	v_cmp_gt_i32_e64 s5, s34, v41
	.loc	1 32 27 is_stmt 1               ; attention_fwd.py:32:27
	v_add_nc_u32_e32 v41, 6, v40
	.loc	1 36 52                         ; attention_fwd.py:36:52
	s_wait_alu depctr_va_sdst(0)
	v_cndmask_b32_e64 v62, 0xff800000, v84, s5
	s_delay_alu instid0(VALU_DEP_2) | instskip(SKIP_1) | instid1(VALU_DEP_3)
	.loc	1 36 40 is_stmt 0               ; attention_fwd.py:36:40
	v_cmp_gt_i32_e64 s6, s34, v41
	.loc	1 32 27 is_stmt 1               ; attention_fwd.py:32:27
	v_add_nc_u32_e32 v41, 7, v40
.Ltmp5:
	.loc	2 170 27                        ; standard.py:170:27 @[ standard.py:191:40 @[ attention_fwd.py:39:42 ] ]
	v_max3_num_f32 v38, v38, v61, v62
.Ltmp6:
	.loc	1 36 52                         ; attention_fwd.py:36:52
	s_wait_alu depctr_va_sdst(0)
	s_delay_alu instid0(VALU_DEP_3) | instskip(NEXT) | instid1(VALU_DEP_3)
	v_cndmask_b32_e64 v63, 0xff800000, v85, s6
	.loc	1 36 40 is_stmt 0               ; attention_fwd.py:36:40
	v_cmp_gt_i32_e64 s7, s34, v41
	.loc	1 32 27 is_stmt 1               ; attention_fwd.py:32:27
	v_add_nc_u32_e32 v41, 16, v40
	.loc	1 36 52                         ; attention_fwd.py:36:52
	s_wait_alu depctr_va_sdst(0)
	s_delay_alu instid0(VALU_DEP_2) | instskip(NEXT) | instid1(VALU_DEP_2)
	v_cndmask_b32_e64 v80, 0xff800000, v86, s7
	.loc	1 36 40 is_stmt 0               ; attention_fwd.py:36:40
	v_cmp_gt_i32_e64 s8, s34, v41
	.loc	1 32 27 is_stmt 1               ; attention_fwd.py:32:27
	v_add_nc_u32_e32 v41, 17, v40
	s_delay_alu instid0(VALU_DEP_3) | instskip(SKIP_1) | instid1(VALU_DEP_3)
.Ltmp7:
	.loc	2 170 27                        ; standard.py:170:27 @[ standard.py:191:40 @[ attention_fwd.py:39:42 ] ]
	v_max3_num_f32 v38, v38, v63, v80
.Ltmp8:
	.loc	1 36 52                         ; attention_fwd.py:36:52
	s_wait_alu depctr_va_sdst(0)
	v_cndmask_b32_e64 v81, 0xff800000, v87, s8
	s_delay_alu instid0(VALU_DEP_3) | instskip(SKIP_2) | instid1(VALU_DEP_2)
	.loc	1 36 40 is_stmt 0               ; attention_fwd.py:36:40
	v_cmp_gt_i32_e64 s9, s34, v41
	.loc	1 32 27 is_stmt 1               ; attention_fwd.py:32:27
	v_add_nc_u32_e32 v41, 18, v40
	.loc	1 36 52                         ; attention_fwd.py:36:52
	s_wait_alu depctr_va_sdst(0)
	v_cndmask_b32_e64 v82, 0xff800000, v88, s9
	s_delay_alu instid0(VALU_DEP_2) | instskip(SKIP_1) | instid1(VALU_DEP_3)
	.loc	1 36 40 is_stmt 0               ; attention_fwd.py:36:40
	v_cmp_gt_i32_e64 s10, s34, v41
	.loc	1 32 27 is_stmt 1               ; attention_fwd.py:32:27
	v_add_nc_u32_e32 v41, 19, v40
.Ltmp9:
	.loc	2 170 27                        ; standard.py:170:27 @[ standard.py:191:40 @[ attention_fwd.py:39:42 ] ]
	v_max3_num_f32 v38, v38, v81, v82
.Ltmp10:
	.loc	1 36 52                         ; attention_fwd.py:36:52
	s_wait_alu depctr_va_sdst(0)
	s_delay_alu instid0(VALU_DEP_3) | instskip(NEXT) | instid1(VALU_DEP_3)
	v_cndmask_b32_e64 v83, 0xff800000, v89, s10
	.loc	1 36 40 is_stmt 0               ; attention_fwd.py:36:40
	v_cmp_gt_i32_e64 s11, s34, v41
	.loc	1 32 27 is_stmt 1               ; attention_fwd.py:32:27
	v_add_nc_u32_e32 v41, 20, v40
	.loc	1 36 52                         ; attention_fwd.py:36:52
	s_wait_alu depctr_va_sdst(0)
	s_delay_alu instid0(VALU_DEP_2) | instskip(NEXT) | instid1(VALU_DEP_2)
	v_cndmask_b32_e64 v84, 0xff800000, v90, s11
	.loc	1 36 40 is_stmt 0               ; attention_fwd.py:36:40
	v_cmp_gt_i32_e64 s12, s34, v41
	.loc	1 32 27 is_stmt 1               ; attention_fwd.py:32:27
	v_add_nc_u32_e32 v41, 21, v40
	s_delay_alu instid0(VALU_DEP_3) | instskip(SKIP_1) | instid1(VALU_DEP_3)
.Ltmp11:
	.loc	2 170 27                        ; standard.py:170:27 @[ standard.py:191:40 @[ attention_fwd.py:39:42 ] ]
	v_max3_num_f32 v38, v38, v83, v84
.Ltmp12:
	.loc	1 36 52                         ; attention_fwd.py:36:52
	s_wait_alu depctr_va_sdst(0)
	v_cndmask_b32_e64 v85, 0xff800000, v91, s12
	s_delay_alu instid0(VALU_DEP_3) | instskip(SKIP_2) | instid1(VALU_DEP_2)
	.loc	1 36 40 is_stmt 0               ; attention_fwd.py:36:40
	v_cmp_gt_i32_e64 s13, s34, v41
	.loc	1 32 27 is_stmt 1               ; attention_fwd.py:32:27
	v_add_nc_u32_e32 v41, 22, v40
	.loc	1 36 52                         ; attention_fwd.py:36:52
	s_wait_alu depctr_va_sdst(0)
	v_cndmask_b32_e64 v86, 0xff800000, v92, s13
	s_delay_alu instid0(VALU_DEP_2) | instskip(SKIP_1) | instid1(VALU_DEP_3)
	.loc	1 36 40 is_stmt 0               ; attention_fwd.py:36:40
	v_cmp_gt_i32_e64 s14, s34, v41
	.loc	1 32 27 is_stmt 1               ; attention_fwd.py:32:27
	v_add_nc_u32_e32 v41, 23, v40
.Ltmp13:
	.loc	2 170 27                        ; standard.py:170:27 @[ standard.py:191:40 @[ attention_fwd.py:39:42 ] ]
	v_max3_num_f32 v38, v38, v85, v86
.Ltmp14:
	.loc	1 36 52                         ; attention_fwd.py:36:52
	s_wait_alu depctr_va_sdst(0)
	s_delay_alu instid0(VALU_DEP_3) | instskip(NEXT) | instid1(VALU_DEP_3)
	v_cndmask_b32_e64 v87, 0xff800000, v93, s14
	.loc	1 36 40 is_stmt 0               ; attention_fwd.py:36:40
	v_cmp_gt_i32_e64 s15, s34, v41
	.loc	1 32 27 is_stmt 1               ; attention_fwd.py:32:27
	v_add_nc_u32_e32 v41, 32, v40
	.loc	1 36 52                         ; attention_fwd.py:36:52
	s_wait_alu depctr_va_sdst(0)
	s_delay_alu instid0(VALU_DEP_2) | instskip(NEXT) | instid1(VALU_DEP_2)
	v_cndmask_b32_e64 v88, 0xff800000, v94, s15
	.loc	1 36 40 is_stmt 0               ; attention_fwd.py:36:40
	v_cmp_gt_i32_e64 s16, s34, v41
	.loc	1 32 27 is_stmt 1               ; attention_fwd.py:32:27
	v_add_nc_u32_e32 v41, 33, v40
	.loc	1 36 52                         ; attention_fwd.py:36:52
	s_wait_alu depctr_va_sdst(0)
	s_delay_alu instid0(VALU_DEP_2) | instskip(NEXT) | instid1(VALU_DEP_2)
	v_cndmask_b32_e64 v89, 0xff800000, v36, s16
	.loc	1 36 40 is_stmt 0               ; attention_fwd.py:36:40
	v_cmp_gt_i32_e64 s17, s34, v41
	.loc	1 32 27 is_stmt 1               ; attention_fwd.py:32:27
	v_add_nc_u32_e32 v41, 34, v40
.Ltmp15:
	.loc	2 170 27                        ; standard.py:170:27 @[ standard.py:191:40 @[ attention_fwd.py:39:42 ] ]
	v_max3_num_f32 v36, v38, v87, v88
.Ltmp16:
	.loc	1 36 52                         ; attention_fwd.py:36:52
	s_wait_alu depctr_va_sdst(0)
	s_delay_alu instid0(VALU_DEP_3) | instskip(NEXT) | instid1(VALU_DEP_3)
	v_cndmask_b32_e64 v48, 0xff800000, v52, s17
	.loc	1 36 40 is_stmt 0               ; attention_fwd.py:36:40
	v_cmp_gt_i32_e64 s18, s34, v41
	.loc	1 32 27 is_stmt 1               ; attention_fwd.py:32:27
	v_add_nc_u32_e32 v41, 35, v40
	s_delay_alu instid0(VALU_DEP_3) | instskip(SKIP_1) | instid1(VALU_DEP_3)
.Ltmp17:
	.loc	2 170 27                        ; standard.py:170:27 @[ standard.py:191:40 @[ attention_fwd.py:39:42 ] ]
	v_max3_num_f32 v36, v36, v89, v48
.Ltmp18:
	.loc	1 36 52                         ; attention_fwd.py:36:52
	s_wait_alu depctr_va_sdst(0)
	v_cndmask_b32_e64 v47, 0xff800000, v53, s18
	s_delay_alu instid0(VALU_DEP_3) | instskip(SKIP_2) | instid1(VALU_DEP_2)
	.loc	1 36 40 is_stmt 0               ; attention_fwd.py:36:40
	v_cmp_gt_i32_e64 s19, s34, v41
	.loc	1 32 27 is_stmt 1               ; attention_fwd.py:32:27
	v_add_nc_u32_e32 v41, 36, v40
	.loc	1 36 52                         ; attention_fwd.py:36:52
	s_wait_alu depctr_va_sdst(0)
	v_cndmask_b32_e64 v46, 0xff800000, v54, s19
	s_delay_alu instid0(VALU_DEP_2) | instskip(SKIP_1) | instid1(VALU_DEP_3)
	.loc	1 36 40 is_stmt 0               ; attention_fwd.py:36:40
	v_cmp_gt_i32_e64 s20, s34, v41
	.loc	1 32 27 is_stmt 1               ; attention_fwd.py:32:27
	v_add_nc_u32_e32 v41, 37, v40
.Ltmp19:
	.loc	2 170 27                        ; standard.py:170:27 @[ standard.py:191:40 @[ attention_fwd.py:39:42 ] ]
	v_max3_num_f32 v36, v36, v47, v46
.Ltmp20:
	.loc	1 36 52                         ; attention_fwd.py:36:52
	s_wait_alu depctr_va_sdst(0)
	s_delay_alu instid0(VALU_DEP_3) | instskip(NEXT) | instid1(VALU_DEP_3)
	v_cndmask_b32_e64 v45, 0xff800000, v55, s20
	.loc	1 36 40 is_stmt 0               ; attention_fwd.py:36:40
	v_cmp_gt_i32_e64 s21, s34, v41
	.loc	1 32 27 is_stmt 1               ; attention_fwd.py:32:27
	v_add_nc_u32_e32 v41, 38, v40
	.loc	1 36 52                         ; attention_fwd.py:36:52
	s_wait_alu depctr_va_sdst(0)
	s_delay_alu instid0(VALU_DEP_2) | instskip(NEXT) | instid1(VALU_DEP_2)
	v_cndmask_b32_e64 v44, 0xff800000, v95, s21
	.loc	1 36 40 is_stmt 0               ; attention_fwd.py:36:40
	v_cmp_gt_i32_e64 s22, s34, v41
	.loc	1 32 27 is_stmt 1               ; attention_fwd.py:32:27
	v_add_nc_u32_e32 v41, 39, v40
	s_delay_alu instid0(VALU_DEP_3) | instskip(SKIP_1) | instid1(VALU_DEP_3)
.Ltmp21:
	.loc	2 170 27                        ; standard.py:170:27 @[ standard.py:191:40 @[ attention_fwd.py:39:42 ] ]
	v_max3_num_f32 v36, v36, v45, v44
.Ltmp22:
	.loc	1 36 52                         ; attention_fwd.py:36:52
	s_wait_alu depctr_va_sdst(0)
	v_cndmask_b32_e64 v43, 0xff800000, v96, s22
	s_delay_alu instid0(VALU_DEP_3) | instskip(SKIP_2) | instid1(VALU_DEP_2)
	.loc	1 36 40 is_stmt 0               ; attention_fwd.py:36:40
	v_cmp_gt_i32_e64 s23, s34, v41
	.loc	1 32 27 is_stmt 1               ; attention_fwd.py:32:27
	v_add_nc_u32_e32 v41, 48, v40
	.loc	1 36 52                         ; attention_fwd.py:36:52
	s_wait_alu depctr_va_sdst(0)
	v_cndmask_b32_e64 v42, 0xff800000, v97, s23
	s_delay_alu instid0(VALU_DEP_2) | instskip(SKIP_1) | instid1(VALU_DEP_1)
	.loc	1 36 40 is_stmt 0               ; attention_fwd.py:36:40
	v_cmp_gt_i32_e64 s24, s34, v41
	.loc	1 32 27 is_stmt 1               ; attention_fwd.py:32:27
	v_add_nc_u32_e32 v41, 49, v40
	.loc	1 36 40                         ; attention_fwd.py:36:40
	v_cmp_gt_i32_e64 s25, s34, v41
	.loc	1 32 27                         ; attention_fwd.py:32:27
	v_add_nc_u32_e32 v41, 50, v40
	s_delay_alu instid0(VALU_DEP_1) | instskip(SKIP_2) | instid1(VALU_DEP_2)
	.loc	1 36 40                         ; attention_fwd.py:36:40
	v_cmp_gt_i32_e64 s26, s34, v41
	.loc	1 32 27                         ; attention_fwd.py:32:27
	v_add_nc_u32_e32 v41, 51, v40
	.loc	1 36 52                         ; attention_fwd.py:36:52
	s_wait_alu depctr_va_sdst(0)
	v_cndmask_b32_e64 v38, 0xff800000, v34, s26
	s_delay_alu instid0(VALU_DEP_2) | instskip(SKIP_1) | instid1(VALU_DEP_1)
	.loc	1 36 40 is_stmt 0               ; attention_fwd.py:36:40
	v_cmp_gt_i32_e64 s27, s34, v41
	.loc	1 32 27 is_stmt 1               ; attention_fwd.py:32:27
	v_add_nc_u32_e32 v41, 52, v40
	.loc	1 36 40                         ; attention_fwd.py:36:40
	v_cmp_gt_i32_e64 s28, s34, v41
	.loc	1 32 27                         ; attention_fwd.py:32:27
	v_add_nc_u32_e32 v41, 53, v40
	s_delay_alu instid0(VALU_DEP_1) | instskip(SKIP_2) | instid1(VALU_DEP_2)
	.loc	1 36 40                         ; attention_fwd.py:36:40
	v_cmp_gt_i32_e64 s29, s34, v41
	.loc	1 32 27                         ; attention_fwd.py:32:27
	v_add_nc_u32_e32 v41, 54, v40
	.loc	1 36 52                         ; attention_fwd.py:36:52
	s_wait_alu depctr_va_sdst(0)
	v_cndmask_b32_e64 v34, 0xff800000, v50, s29
	s_delay_alu instid0(VALU_DEP_2) | instskip(SKIP_3) | instid1(VALU_DEP_3)
	.loc	1 36 40 is_stmt 0               ; attention_fwd.py:36:40
	v_cmp_gt_i32_e64 s30, s34, v41
	.loc	1 33 39 is_stmt 1               ; attention_fwd.py:33:39
	v_add_nc_u32_e32 v41, 55, v40
	.loc	1 36 52                         ; attention_fwd.py:36:52
	v_cndmask_b32_e64 v40, 0xff800000, v33, s25
	s_wait_alu depctr_va_sdst(0)
	v_cndmask_b32_e64 v33, 0xff800000, v51, s30
	s_delay_alu instid0(VALU_DEP_3) | instskip(SKIP_4) | instid1(VALU_DEP_3)
	.loc	1 36 40 is_stmt 0               ; attention_fwd.py:36:40
	v_cmp_gt_i32_e64 s31, s34, v41
	.loc	1 36 52                         ; attention_fwd.py:36:52
	v_cndmask_b32_e64 v41, 0xff800000, v32, s24
.Ltmp23:
	.loc	2 170 27 is_stmt 1              ; standard.py:170:27 @[ standard.py:191:40 @[ attention_fwd.py:39:42 ] ]
	v_max3_num_f32 v32, v36, v43, v42
.Ltmp24:
	.loc	1 36 52                         ; attention_fwd.py:36:52
	v_cndmask_b32_e64 v36, 0xff800000, v35, s27
	v_cndmask_b32_e64 v35, 0xff800000, v49, s28
.Ltmp25:
	.loc	2 170 27                        ; standard.py:170:27 @[ standard.py:191:40 @[ attention_fwd.py:39:42 ] ]
	v_max3_num_f32 v32, v32, v41, v40
	s_delay_alu instid0(VALU_DEP_1) | instskip(SKIP_2) | instid1(VALU_DEP_2)
	v_max3_num_f32 v49, v32, v38, v36
.Ltmp26:
	.loc	1 36 52                         ; attention_fwd.py:36:52
	s_wait_alu depctr_va_sdst(0)
	v_cndmask_b32_e64 v32, 0xff800000, v56, s31
.Ltmp27:
	.loc	2 170 27                        ; standard.py:170:27 @[ standard.py:191:40 @[ attention_fwd.py:39:42 ] ]
	v_max3_num_f32 v49, v49, v35, v34
	s_delay_alu instid0(VALU_DEP_1) | instskip(NEXT) | instid1(VALU_DEP_1)
	v_max3_num_f32 v49, v49, v33, v32
.Ltmp28:
	.loc	2 191 40                        ; standard.py:191:40 @[ attention_fwd.py:39:42 ]
	v_permlanex16_b32 v50, v49, s0, 0xfedcba98 op_sel:[1,0]
	s_delay_alu instid0(VALU_DEP_1) | instskip(NEXT) | instid1(VALU_DEP_1)
.Ltmp29:
	.loc	1 39 31                         ; attention_fwd.py:39:31
	v_max3_num_f32 v118, v37, v49, v50
	.loc	1 40 24                         ; attention_fwd.py:40:24
	v_sub_f32_e32 v49, v57, v118
	v_sub_f32_e32 v41, v41, v118
	;; [unrolled: 1-line block ×5, first 2 shown]
	.loc	1 40 19 is_stmt 0               ; attention_fwd.py:40:19
	v_dual_mul_f32 v50, 0x3fb8aa3b, v49 :: v_dual_sub_f32 v35, v35, v118
	.loc	1 40 24                         ; attention_fwd.py:40:24
	v_sub_f32_e32 v33, v33, v118
	v_sub_f32_e32 v48, v48, v118
	;; [unrolled: 1-line block ×3, first 2 shown]
	s_delay_alu instid0(VALU_DEP_4)
	.loc	1 40 19                         ; attention_fwd.py:40:19
	v_cmp_gt_f32_e32 vcc_lo, 0xc2fc0000, v50
	.loc	1 40 24                         ; attention_fwd.py:40:24
	v_sub_f32_e32 v46, v46, v118
	v_sub_f32_e32 v45, v45, v118
	;; [unrolled: 1-line block ×4, first 2 shown]
	.loc	1 40 19                         ; attention_fwd.py:40:19
	s_wait_alu depctr_va_vcc(0)
	v_cndmask_b32_e64 v50, 0, 0x42800000, vcc_lo
	.loc	1 40 24                         ; attention_fwd.py:40:24
	v_sub_f32_e32 v38, v38, v118
	v_sub_f32_e32 v34, v34, v118
	;; [unrolled: 1-line block ×3, first 2 shown]
	s_delay_alu instid0(VALU_DEP_4) | instskip(NEXT) | instid1(VALU_DEP_1)
	.loc	1 40 19                         ; attention_fwd.py:40:19
	v_dual_fmac_f32 v50, 0x3fb8aa3b, v49 :: v_dual_sub_f32 v49, v58, v118
	v_mul_f32_e32 v51, 0x3fb8aa3b, v49
	s_delay_alu instid0(VALU_DEP_1) | instskip(SKIP_1) | instid1(VALU_DEP_1)
	v_cmp_gt_f32_e64 s2, 0xc2fc0000, v51
	s_wait_alu depctr_va_sdst(0)
	v_cndmask_b32_e64 v51, 0, 0x42800000, s2
	s_delay_alu instid0(VALU_DEP_1)
	v_fmac_f32_e32 v51, 0x3fb8aa3b, v49
	v_exp_f32_e32 v49, v50
	v_cndmask_b32_e64 v50, 0, 0xffffffc0, vcc_lo
	s_delay_alu instid0(TRANS32_DEP_1) | instid1(VALU_DEP_1)
	v_ldexp_f32 v152, v49, v50
	.loc	1 40 24                         ; attention_fwd.py:40:24
	v_sub_f32_e32 v49, v59, v118
	s_delay_alu instid0(VALU_DEP_1) | instskip(NEXT) | instid1(VALU_DEP_1)
	.loc	1 40 19                         ; attention_fwd.py:40:19
	v_mul_f32_e32 v50, 0x3fb8aa3b, v49
	v_cmp_gt_f32_e32 vcc_lo, 0xc2fc0000, v50
	s_wait_alu depctr_va_vcc(0)
	v_cndmask_b32_e64 v50, 0, 0x42800000, vcc_lo
	s_delay_alu instid0(VALU_DEP_1) | instskip(NEXT) | instid1(VALU_DEP_1)
	v_dual_fmac_f32 v50, 0x3fb8aa3b, v49 :: v_dual_sub_f32 v49, v60, v118
	v_mul_f32_e32 v52, 0x3fb8aa3b, v49
	s_delay_alu instid0(VALU_DEP_1) | instskip(SKIP_1) | instid1(VALU_DEP_1)
	v_cmp_gt_f32_e64 s3, 0xc2fc0000, v52
	s_wait_alu depctr_va_sdst(0)
	v_cndmask_b32_e64 v52, 0, 0x42800000, s3
	s_delay_alu instid0(VALU_DEP_1) | instskip(NEXT) | instid1(VALU_DEP_1)
	v_dual_fmac_f32 v52, 0x3fb8aa3b, v49 :: v_dual_sub_f32 v49, v61, v118
	v_mul_f32_e32 v53, 0x3fb8aa3b, v49
	s_delay_alu instid0(VALU_DEP_1) | instskip(SKIP_1) | instid1(VALU_DEP_1)
	v_cmp_gt_f32_e64 s4, 0xc2fc0000, v53
	s_wait_alu depctr_va_sdst(0)
	v_cndmask_b32_e64 v53, 0, 0x42800000, s4
	s_delay_alu instid0(VALU_DEP_1)
	v_fmac_f32_e32 v53, 0x3fb8aa3b, v49
	v_exp_f32_e32 v49, v51
	v_cndmask_b32_e64 v51, 0, 0xffffffc0, s2
	s_delay_alu instid0(TRANS32_DEP_1) | instid1(VALU_DEP_1)
	v_ldexp_f32 v153, v49, v51
	.loc	1 40 24                         ; attention_fwd.py:40:24
	v_sub_f32_e32 v49, v62, v118
	s_delay_alu instid0(VALU_DEP_1) | instskip(NEXT) | instid1(VALU_DEP_1)
	.loc	1 40 19                         ; attention_fwd.py:40:19
	v_mul_f32_e32 v51, 0x3fb8aa3b, v49
	v_cmp_gt_f32_e64 s2, 0xc2fc0000, v51
	s_wait_alu depctr_va_sdst(0)
	s_delay_alu instid0(VALU_DEP_1) | instskip(NEXT) | instid1(VALU_DEP_1)
	v_cndmask_b32_e64 v51, 0, 0x42800000, s2
	v_fmac_f32_e32 v51, 0x3fb8aa3b, v49
	v_exp_f32_e32 v49, v50
	v_cndmask_b32_e64 v50, 0, 0xffffffc0, vcc_lo
	s_delay_alu instid0(TRANS32_DEP_1) | instid1(VALU_DEP_1)
	v_ldexp_f32 v154, v49, v50
	v_exp_f32_e32 v49, v52
	v_cndmask_b32_e64 v50, 0, 0xffffffc0, s3
	s_delay_alu instid0(TRANS32_DEP_1) | instid1(VALU_DEP_1)
	v_ldexp_f32 v155, v49, v50
	v_exp_f32_e32 v49, v53
	v_cndmask_b32_e64 v50, 0, 0xffffffc0, s4
	s_delay_alu instid0(TRANS32_DEP_1) | instid1(VALU_DEP_1)
	v_ldexp_f32 v156, v49, v50
	.loc	1 40 24                         ; attention_fwd.py:40:24
	v_sub_f32_e32 v49, v63, v118
	s_delay_alu instid0(VALU_DEP_1) | instskip(NEXT) | instid1(VALU_DEP_1)
	.loc	1 40 19                         ; attention_fwd.py:40:19
	v_mul_f32_e32 v50, 0x3fb8aa3b, v49
	v_cmp_gt_f32_e32 vcc_lo, 0xc2fc0000, v50
	s_wait_alu depctr_va_vcc(0)
	v_cndmask_b32_e64 v50, 0, 0x42800000, vcc_lo
	s_delay_alu instid0(VALU_DEP_1)
	v_fmac_f32_e32 v50, 0x3fb8aa3b, v49
	v_exp_f32_e32 v49, v51
	v_cndmask_b32_e64 v51, 0, 0xffffffc0, s2
	s_delay_alu instid0(TRANS32_DEP_1) | instid1(VALU_DEP_1)
	v_ldexp_f32 v157, v49, v51
	.loc	1 40 24                         ; attention_fwd.py:40:24
	v_sub_f32_e32 v49, v80, v118
	s_delay_alu instid0(VALU_DEP_1) | instskip(NEXT) | instid1(VALU_DEP_1)
	.loc	1 40 19                         ; attention_fwd.py:40:19
	v_mul_f32_e32 v51, 0x3fb8aa3b, v49
	v_cmp_gt_f32_e64 s2, 0xc2fc0000, v51
	s_wait_alu depctr_va_sdst(0)
	s_delay_alu instid0(VALU_DEP_1) | instskip(NEXT) | instid1(VALU_DEP_1)
	v_cndmask_b32_e64 v51, 0, 0x42800000, s2
	v_fmac_f32_e32 v51, 0x3fb8aa3b, v49
	.loc	1 40 24                         ; attention_fwd.py:40:24
	v_sub_f32_e32 v49, v81, v118
	s_delay_alu instid0(VALU_DEP_1) | instskip(NEXT) | instid1(VALU_DEP_1)
	.loc	1 40 19                         ; attention_fwd.py:40:19
	v_mul_f32_e32 v52, 0x3fb8aa3b, v49
	v_cmp_gt_f32_e64 s3, 0xc2fc0000, v52
	s_wait_alu depctr_va_sdst(0)
	s_delay_alu instid0(VALU_DEP_1) | instskip(NEXT) | instid1(VALU_DEP_1)
	v_cndmask_b32_e64 v52, 0, 0x42800000, s3
	v_dual_fmac_f32 v52, 0x3fb8aa3b, v49 :: v_dual_sub_f32 v49, v82, v118
	s_delay_alu instid0(VALU_DEP_1) | instskip(NEXT) | instid1(VALU_DEP_1)
	v_mul_f32_e32 v53, 0x3fb8aa3b, v49
	v_cmp_gt_f32_e64 s4, 0xc2fc0000, v53
	s_wait_alu depctr_va_sdst(0)
	s_delay_alu instid0(VALU_DEP_1) | instskip(NEXT) | instid1(VALU_DEP_1)
	v_cndmask_b32_e64 v53, 0, 0x42800000, s4
	v_fmac_f32_e32 v53, 0x3fb8aa3b, v49
	v_exp_f32_e32 v49, v50
	v_cndmask_b32_e64 v50, 0, 0xffffffc0, vcc_lo
	s_delay_alu instid0(TRANS32_DEP_1) | instid1(VALU_DEP_1)
	v_ldexp_f32 v158, v49, v50
	.loc	1 40 24                         ; attention_fwd.py:40:24
	v_sub_f32_e32 v49, v83, v118
	s_delay_alu instid0(VALU_DEP_1) | instskip(NEXT) | instid1(VALU_DEP_1)
	.loc	1 40 19                         ; attention_fwd.py:40:19
	v_mul_f32_e32 v50, 0x3fb8aa3b, v49
	v_cmp_gt_f32_e32 vcc_lo, 0xc2fc0000, v50
	s_wait_alu depctr_va_vcc(0)
	v_cndmask_b32_e64 v50, 0, 0x42800000, vcc_lo
	s_delay_alu instid0(VALU_DEP_1)
	v_fmac_f32_e32 v50, 0x3fb8aa3b, v49
	v_exp_f32_e32 v49, v51
	v_cndmask_b32_e64 v51, 0, 0xffffffc0, s2
	s_delay_alu instid0(TRANS32_DEP_1) | instid1(VALU_DEP_1)
	v_ldexp_f32 v159, v49, v51
	v_exp_f32_e32 v49, v52
	v_cndmask_b32_e64 v51, 0, 0xffffffc0, s3
	s_delay_alu instid0(TRANS32_DEP_1) | instid1(VALU_DEP_1)
	v_ldexp_f32 v160, v49, v51
	;; [unrolled: 4-line block ×3, first 2 shown]
	.loc	1 40 24                         ; attention_fwd.py:40:24
	v_sub_f32_e32 v49, v84, v118
	s_delay_alu instid0(VALU_DEP_1) | instskip(NEXT) | instid1(VALU_DEP_1)
	.loc	1 40 19                         ; attention_fwd.py:40:19
	v_mul_f32_e32 v51, 0x3fb8aa3b, v49
	v_cmp_gt_f32_e64 s2, 0xc2fc0000, v51
	s_wait_alu depctr_va_sdst(0)
	s_delay_alu instid0(VALU_DEP_1) | instskip(NEXT) | instid1(VALU_DEP_1)
	v_cndmask_b32_e64 v51, 0, 0x42800000, s2
	v_fmac_f32_e32 v51, 0x3fb8aa3b, v49
	v_exp_f32_e32 v49, v50
	v_cndmask_b32_e64 v50, 0, 0xffffffc0, vcc_lo
	s_delay_alu instid0(TRANS32_DEP_1) | instid1(VALU_DEP_1)
	v_ldexp_f32 v162, v49, v50
	.loc	1 40 24                         ; attention_fwd.py:40:24
	v_sub_f32_e32 v49, v85, v118
	s_delay_alu instid0(VALU_DEP_1) | instskip(NEXT) | instid1(VALU_DEP_1)
	.loc	1 40 19                         ; attention_fwd.py:40:19
	v_mul_f32_e32 v50, 0x3fb8aa3b, v49
	v_cmp_gt_f32_e32 vcc_lo, 0xc2fc0000, v50
	s_wait_alu depctr_va_vcc(0)
	v_cndmask_b32_e64 v50, 0, 0x42800000, vcc_lo
	s_delay_alu instid0(VALU_DEP_1) | instskip(NEXT) | instid1(VALU_DEP_1)
	v_dual_fmac_f32 v50, 0x3fb8aa3b, v49 :: v_dual_sub_f32 v49, v86, v118
	v_mul_f32_e32 v52, 0x3fb8aa3b, v49
	s_delay_alu instid0(VALU_DEP_1) | instskip(SKIP_1) | instid1(VALU_DEP_1)
	v_cmp_gt_f32_e64 s3, 0xc2fc0000, v52
	s_wait_alu depctr_va_sdst(0)
	v_cndmask_b32_e64 v52, 0, 0x42800000, s3
	s_delay_alu instid0(VALU_DEP_1) | instskip(NEXT) | instid1(VALU_DEP_1)
	v_dual_fmac_f32 v52, 0x3fb8aa3b, v49 :: v_dual_sub_f32 v49, v87, v118
	v_mul_f32_e32 v53, 0x3fb8aa3b, v49
	s_delay_alu instid0(VALU_DEP_1) | instskip(SKIP_1) | instid1(VALU_DEP_1)
	v_cmp_gt_f32_e64 s4, 0xc2fc0000, v53
	s_wait_alu depctr_va_sdst(0)
	v_cndmask_b32_e64 v53, 0, 0x42800000, s4
	s_delay_alu instid0(VALU_DEP_1)
	v_fmac_f32_e32 v53, 0x3fb8aa3b, v49
	v_exp_f32_e32 v49, v51
	v_cndmask_b32_e64 v51, 0, 0xffffffc0, s2
	s_delay_alu instid0(TRANS32_DEP_1) | instid1(VALU_DEP_1)
	v_ldexp_f32 v163, v49, v51
	.loc	1 40 24                         ; attention_fwd.py:40:24
	v_sub_f32_e32 v49, v88, v118
	s_delay_alu instid0(VALU_DEP_1) | instskip(NEXT) | instid1(VALU_DEP_1)
	.loc	1 40 19                         ; attention_fwd.py:40:19
	v_mul_f32_e32 v51, 0x3fb8aa3b, v49
	v_cmp_gt_f32_e64 s2, 0xc2fc0000, v51
	s_wait_alu depctr_va_sdst(0)
	s_delay_alu instid0(VALU_DEP_1) | instskip(NEXT) | instid1(VALU_DEP_1)
	v_cndmask_b32_e64 v51, 0, 0x42800000, s2
	v_fmac_f32_e32 v51, 0x3fb8aa3b, v49
	v_exp_f32_e32 v49, v50
	v_cndmask_b32_e64 v50, 0, 0xffffffc0, vcc_lo
	s_delay_alu instid0(TRANS32_DEP_1) | instid1(VALU_DEP_1)
	v_ldexp_f32 v164, v49, v50
	v_exp_f32_e32 v49, v52
	v_cndmask_b32_e64 v50, 0, 0xffffffc0, s3
	s_delay_alu instid0(TRANS32_DEP_1) | instid1(VALU_DEP_1)
	v_ldexp_f32 v165, v49, v50
	v_exp_f32_e32 v49, v53
	v_cndmask_b32_e64 v50, 0, 0xffffffc0, s4
	s_delay_alu instid0(TRANS32_DEP_1) | instid1(VALU_DEP_1)
	v_ldexp_f32 v166, v49, v50
	.loc	1 40 24                         ; attention_fwd.py:40:24
	v_sub_f32_e32 v49, v89, v118
	s_delay_alu instid0(VALU_DEP_1) | instskip(NEXT) | instid1(VALU_DEP_1)
	.loc	1 40 19                         ; attention_fwd.py:40:19
	v_mul_f32_e32 v50, 0x3fb8aa3b, v49
	v_cmp_gt_f32_e32 vcc_lo, 0xc2fc0000, v50
	s_wait_alu depctr_va_vcc(0)
	v_cndmask_b32_e64 v50, 0, 0x42800000, vcc_lo
	s_delay_alu instid0(VALU_DEP_1)
	v_fmac_f32_e32 v50, 0x3fb8aa3b, v49
	v_exp_f32_e32 v49, v51
	v_cndmask_b32_e64 v51, 0, 0xffffffc0, s2
	s_delay_alu instid0(TRANS32_DEP_1) | instid1(VALU_DEP_1)
	v_ldexp_f32 v167, v49, v51
	v_mul_f32_e32 v49, 0x3fb8aa3b, v48
	s_delay_alu instid0(VALU_DEP_1) | instskip(SKIP_1) | instid1(VALU_DEP_1)
	v_cmp_gt_f32_e64 s2, 0xc2fc0000, v49
	s_wait_alu depctr_va_sdst(0)
	v_cndmask_b32_e64 v49, 0, 0x42800000, s2
	s_delay_alu instid0(VALU_DEP_1) | instskip(NEXT) | instid1(VALU_DEP_1)
	v_dual_fmac_f32 v49, 0x3fb8aa3b, v48 :: v_dual_mul_f32 v48, 0x3fb8aa3b, v47
	v_cmp_gt_f32_e64 s3, 0xc2fc0000, v48
	s_wait_alu depctr_va_sdst(0)
	s_delay_alu instid0(VALU_DEP_1) | instskip(NEXT) | instid1(VALU_DEP_1)
	v_cndmask_b32_e64 v48, 0, 0x42800000, s3
	v_fmac_f32_e32 v48, 0x3fb8aa3b, v47
	v_exp_f32_e32 v47, v50
	v_cndmask_b32_e64 v50, 0, 0xffffffc0, vcc_lo
	s_delay_alu instid0(TRANS32_DEP_1) | instid1(VALU_DEP_1)
	v_ldexp_f32 v168, v47, v50
	v_mul_f32_e32 v47, 0x3fb8aa3b, v46
	s_delay_alu instid0(VALU_DEP_1) | instskip(SKIP_2) | instid1(VALU_DEP_1)
	v_cmp_gt_f32_e32 vcc_lo, 0xc2fc0000, v47
	s_wait_alu depctr_va_vcc(0)
	v_cndmask_b32_e64 v47, 0, 0x42800000, vcc_lo
	v_fmac_f32_e32 v47, 0x3fb8aa3b, v46
	v_exp_f32_e32 v46, v49
	v_cndmask_b32_e64 v49, 0, 0xffffffc0, s2
	s_delay_alu instid0(TRANS32_DEP_1) | instid1(VALU_DEP_1)
	v_ldexp_f32 v169, v46, v49
	v_exp_f32_e32 v46, v48
	v_cndmask_b32_e64 v48, 0, 0xffffffc0, s3
	s_delay_alu instid0(TRANS32_DEP_1) | instid1(VALU_DEP_1)
	v_ldexp_f32 v170, v46, v48
	v_mul_f32_e32 v46, 0x3fb8aa3b, v45
	s_delay_alu instid0(VALU_DEP_1) | instskip(SKIP_1) | instid1(VALU_DEP_1)
	v_cmp_gt_f32_e64 s2, 0xc2fc0000, v46
	s_wait_alu depctr_va_sdst(0)
	v_cndmask_b32_e64 v46, 0, 0x42800000, s2
	s_delay_alu instid0(VALU_DEP_1)
	v_fmac_f32_e32 v46, 0x3fb8aa3b, v45
	v_exp_f32_e32 v45, v47
	v_cndmask_b32_e64 v47, 0, 0xffffffc0, vcc_lo
	s_delay_alu instid0(TRANS32_DEP_1) | instid1(VALU_DEP_1)
	v_ldexp_f32 v171, v45, v47
	v_mul_f32_e32 v45, 0x3fb8aa3b, v44
	s_delay_alu instid0(VALU_DEP_1) | instskip(SKIP_2) | instid1(VALU_DEP_1)
	v_cmp_gt_f32_e32 vcc_lo, 0xc2fc0000, v45
	s_wait_alu depctr_va_vcc(0)
	v_cndmask_b32_e64 v45, 0, 0x42800000, vcc_lo
	v_dual_fmac_f32 v45, 0x3fb8aa3b, v44 :: v_dual_mul_f32 v44, 0x3fb8aa3b, v43
	s_delay_alu instid0(VALU_DEP_1) | instskip(SKIP_1) | instid1(VALU_DEP_1)
	v_cmp_gt_f32_e64 s3, 0xc2fc0000, v44
	s_wait_alu depctr_va_sdst(0)
	v_cndmask_b32_e64 v44, 0, 0x42800000, s3
	s_delay_alu instid0(VALU_DEP_1)
	v_fmac_f32_e32 v44, 0x3fb8aa3b, v43
	v_exp_f32_e32 v43, v46
	v_cndmask_b32_e64 v46, 0, 0xffffffc0, s2
	s_delay_alu instid0(TRANS32_DEP_1) | instid1(VALU_DEP_1)
	v_ldexp_f32 v172, v43, v46
	v_mul_f32_e32 v43, 0x3fb8aa3b, v42
	s_delay_alu instid0(VALU_DEP_1) | instskip(SKIP_1) | instid1(VALU_DEP_1)
	v_cmp_gt_f32_e64 s2, 0xc2fc0000, v43
	s_wait_alu depctr_va_sdst(0)
	v_cndmask_b32_e64 v43, 0, 0x42800000, s2
	s_delay_alu instid0(VALU_DEP_1)
	v_fmac_f32_e32 v43, 0x3fb8aa3b, v42
	v_exp_f32_e32 v42, v45
	v_cndmask_b32_e64 v45, 0, 0xffffffc0, vcc_lo
	s_delay_alu instid0(TRANS32_DEP_1) | instid1(VALU_DEP_1)
	v_ldexp_f32 v173, v42, v45
	v_exp_f32_e32 v42, v44
	v_cndmask_b32_e64 v44, 0, 0xffffffc0, s3
	s_delay_alu instid0(TRANS32_DEP_1) | instid1(VALU_DEP_1)
	v_ldexp_f32 v174, v42, v44
	v_mul_f32_e32 v42, 0x3fb8aa3b, v41
	s_delay_alu instid0(VALU_DEP_1) | instskip(SKIP_2) | instid1(VALU_DEP_1)
	v_cmp_gt_f32_e32 vcc_lo, 0xc2fc0000, v42
	s_wait_alu depctr_va_vcc(0)
	v_cndmask_b32_e64 v42, 0, 0x42800000, vcc_lo
	v_fmac_f32_e32 v42, 0x3fb8aa3b, v41
	v_exp_f32_e32 v41, v43
	v_cndmask_b32_e64 v43, 0, 0xffffffc0, s2
	s_delay_alu instid0(TRANS32_DEP_1) | instid1(VALU_DEP_1)
	v_ldexp_f32 v175, v41, v43
	v_mul_f32_e32 v41, 0x3fb8aa3b, v40
	s_delay_alu instid0(VALU_DEP_1) | instskip(SKIP_1) | instid1(VALU_DEP_1)
	v_cmp_gt_f32_e64 s2, 0xc2fc0000, v41
	s_wait_alu depctr_va_sdst(0)
	v_cndmask_b32_e64 v41, 0, 0x42800000, s2
	s_delay_alu instid0(VALU_DEP_1) | instskip(NEXT) | instid1(VALU_DEP_1)
	v_dual_fmac_f32 v41, 0x3fb8aa3b, v40 :: v_dual_mul_f32 v40, 0x3fb8aa3b, v38
	v_cmp_gt_f32_e64 s3, 0xc2fc0000, v40
	s_wait_alu depctr_va_sdst(0)
	s_delay_alu instid0(VALU_DEP_1) | instskip(NEXT) | instid1(VALU_DEP_1)
	v_cndmask_b32_e64 v40, 0, 0x42800000, s3
	v_fmac_f32_e32 v40, 0x3fb8aa3b, v38
	v_exp_f32_e32 v38, v42
	v_cndmask_b32_e64 v42, 0, 0xffffffc0, vcc_lo
	s_delay_alu instid0(TRANS32_DEP_1) | instid1(VALU_DEP_1)
	v_ldexp_f32 v176, v38, v42
	v_mul_f32_e32 v38, 0x3fb8aa3b, v36
	s_delay_alu instid0(VALU_DEP_1) | instskip(SKIP_2) | instid1(VALU_DEP_1)
	v_cmp_gt_f32_e32 vcc_lo, 0xc2fc0000, v38
	s_wait_alu depctr_va_vcc(0)
	v_cndmask_b32_e64 v38, 0, 0x42800000, vcc_lo
	v_fmac_f32_e32 v38, 0x3fb8aa3b, v36
	v_exp_f32_e32 v36, v41
	v_cndmask_b32_e64 v41, 0, 0xffffffc0, s2
	s_delay_alu instid0(TRANS32_DEP_1) | instid1(VALU_DEP_1)
	v_ldexp_f32 v177, v36, v41
	v_exp_f32_e32 v36, v40
	v_cndmask_b32_e64 v40, 0, 0xffffffc0, s3
	s_delay_alu instid0(TRANS32_DEP_1) | instid1(VALU_DEP_1)
	v_ldexp_f32 v178, v36, v40
	v_mul_f32_e32 v36, 0x3fb8aa3b, v35
	s_delay_alu instid0(VALU_DEP_1) | instskip(SKIP_1) | instid1(VALU_DEP_1)
	v_cmp_gt_f32_e64 s2, 0xc2fc0000, v36
	s_wait_alu depctr_va_sdst(0)
	v_cndmask_b32_e64 v36, 0, 0x42800000, s2
	s_delay_alu instid0(VALU_DEP_1)
	v_fmac_f32_e32 v36, 0x3fb8aa3b, v35
	v_exp_f32_e32 v35, v38
	v_cndmask_b32_e64 v38, 0, 0xffffffc0, vcc_lo
	s_delay_alu instid0(TRANS32_DEP_1) | instid1(VALU_DEP_1)
	v_ldexp_f32 v179, v35, v38
	v_mul_f32_e32 v35, 0x3fb8aa3b, v34
	s_delay_alu instid0(VALU_DEP_1) | instskip(SKIP_2) | instid1(VALU_DEP_1)
	v_cmp_gt_f32_e32 vcc_lo, 0xc2fc0000, v35
	s_wait_alu depctr_va_vcc(0)
	v_cndmask_b32_e64 v35, 0, 0x42800000, vcc_lo
	v_dual_fmac_f32 v35, 0x3fb8aa3b, v34 :: v_dual_mul_f32 v34, 0x3fb8aa3b, v33
	s_delay_alu instid0(VALU_DEP_1) | instskip(SKIP_1) | instid1(VALU_DEP_1)
	v_cmp_gt_f32_e64 s3, 0xc2fc0000, v34
	s_wait_alu depctr_va_sdst(0)
	v_cndmask_b32_e64 v34, 0, 0x42800000, s3
	s_delay_alu instid0(VALU_DEP_1)
	v_fmac_f32_e32 v34, 0x3fb8aa3b, v33
	v_exp_f32_e32 v33, v36
	v_cndmask_b32_e64 v36, 0, 0xffffffc0, s2
	s_delay_alu instid0(TRANS32_DEP_1) | instid1(VALU_DEP_1)
	v_ldexp_f32 v180, v33, v36
	v_mul_f32_e32 v33, 0x3fb8aa3b, v32
	s_delay_alu instid0(VALU_DEP_1) | instskip(SKIP_1) | instid1(VALU_DEP_1)
	v_cmp_gt_f32_e64 s2, 0xc2fc0000, v33
	s_wait_alu depctr_va_sdst(0)
	v_cndmask_b32_e64 v33, 0, 0x42800000, s2
	s_delay_alu instid0(VALU_DEP_1)
	v_fmac_f32_e32 v33, 0x3fb8aa3b, v32
	v_exp_f32_e32 v32, v35
	v_cndmask_b32_e64 v35, 0, 0xffffffc0, vcc_lo
	.loc	1 45 20 is_stmt 1               ; attention_fwd.py:45:20
	s_and_not1_b32 vcc_lo, exec_lo, s49
	s_delay_alu instid0(TRANS32_DEP_1) | instid1(VALU_DEP_1)
	.loc	1 40 19                         ; attention_fwd.py:40:19
	v_ldexp_f32 v181, v32, v35
	v_exp_f32_e32 v32, v34
	v_cndmask_b32_e64 v34, 0, 0xffffffc0, s3
	s_delay_alu instid0(TRANS32_DEP_1) | instid1(VALU_DEP_1)
	v_ldexp_f32 v182, v32, v34
	v_exp_f32_e32 v32, v33
	v_cndmask_b32_e64 v33, 0, 0xffffffc0, s2
	s_delay_alu instid0(TRANS32_DEP_1) | instid1(VALU_DEP_1)
	v_ldexp_f32 v183, v32, v33
.Ltmp30:
	.loc	2 263 15                        ; standard.py:263:15 @[ standard.py:293:36 @[ attention_fwd.py:42:38 ] ]
	v_add_f32_e32 v32, v152, v153
	s_delay_alu instid0(VALU_DEP_1) | instskip(NEXT) | instid1(VALU_DEP_1)
	v_add_f32_e32 v32, v154, v32
	v_add_f32_e32 v32, v155, v32
	s_delay_alu instid0(VALU_DEP_1) | instskip(NEXT) | instid1(VALU_DEP_1)
	v_add_f32_e32 v32, v156, v32
	;; [unrolled: 3-line block ×15, first 2 shown]
	v_add_f32_e32 v32, v183, v32
	s_delay_alu instid0(VALU_DEP_1)
.Ltmp31:
	.loc	2 293 36                        ; standard.py:293:36 @[ attention_fwd.py:42:38 ]
	v_permlanex16_b32 v33, v32, s0, 0xfedcba98 op_sel:[1,0]
.Ltmp32:
	.loc	1 45 20                         ; attention_fwd.py:45:20
	s_wait_alu depctr_sa_sdst(0)
	s_cbranch_vccz .LBB0_291
; %bb.260:                              ;   in Loop: Header=BB0_195 Depth=1
	.loc	1 0 20 is_stmt 0                ; attention_fwd.py:0:20
	v_dual_mov_b32 v184, 0 :: v_dual_mov_b32 v185, 0
	.loc	1 45 20                         ; attention_fwd.py:45:20
	s_and_not1_b32 vcc_lo, exec_lo, s48
	s_wait_alu depctr_sa_sdst(0)
	s_cbranch_vccz .LBB0_292
.LBB0_261:                              ;   in Loop: Header=BB0_195 Depth=1
	s_and_not1_b32 vcc_lo, exec_lo, s50
	s_wait_alu depctr_sa_sdst(0)
	s_cbranch_vccz .LBB0_293
.LBB0_262:                              ;   in Loop: Header=BB0_195 Depth=1
	.loc	1 0 20                          ; attention_fwd.py:0:20
	v_dual_mov_b32 v186, 0 :: v_dual_mov_b32 v187, 0
	.loc	1 45 20                         ; attention_fwd.py:45:20
	s_and_not1_b32 vcc_lo, exec_lo, s51
	s_wait_alu depctr_sa_sdst(0)
	s_cbranch_vccz .LBB0_294
.LBB0_263:                              ;   in Loop: Header=BB0_195 Depth=1
	s_and_not1_b32 vcc_lo, exec_lo, s52
	s_wait_alu depctr_sa_sdst(0)
	s_cbranch_vccz .LBB0_295
.LBB0_264:                              ;   in Loop: Header=BB0_195 Depth=1
	.loc	1 0 20                          ; attention_fwd.py:0:20
	v_mov_b32_e32 v188, 0
	v_mov_b32_e32 v190, 0
	.loc	1 45 20                         ; attention_fwd.py:45:20
	s_and_not1_b32 vcc_lo, exec_lo, s53
	s_wait_alu depctr_sa_sdst(0)
	s_cbranch_vccz .LBB0_296
.LBB0_265:                              ;   in Loop: Header=BB0_195 Depth=1
	s_and_not1_b32 vcc_lo, exec_lo, s54
	s_wait_alu depctr_sa_sdst(0)
	s_cbranch_vccz .LBB0_297
.LBB0_266:                              ;   in Loop: Header=BB0_195 Depth=1
	.loc	1 0 20                          ; attention_fwd.py:0:20
	v_dual_mov_b32 v191, 0 :: v_dual_mov_b32 v192, 0
	.loc	1 45 20                         ; attention_fwd.py:45:20
	s_and_not1_b32 vcc_lo, exec_lo, s55
	s_wait_alu depctr_sa_sdst(0)
	s_cbranch_vccz .LBB0_298
.LBB0_267:                              ;   in Loop: Header=BB0_195 Depth=1
	s_and_not1_b32 vcc_lo, exec_lo, s56
	s_wait_alu depctr_sa_sdst(0)
	s_cbranch_vccz .LBB0_299
.LBB0_268:                              ;   in Loop: Header=BB0_195 Depth=1
	.loc	1 0 20                          ; attention_fwd.py:0:20
	v_dual_mov_b32 v194, 0 :: v_dual_mov_b32 v195, 0
	.loc	1 45 20                         ; attention_fwd.py:45:20
	s_and_not1_b32 vcc_lo, exec_lo, s57
	s_wait_alu depctr_sa_sdst(0)
	s_cbranch_vccz .LBB0_300
.LBB0_269:                              ;   in Loop: Header=BB0_195 Depth=1
	s_and_not1_b32 vcc_lo, exec_lo, s58
	s_wait_alu depctr_sa_sdst(0)
	s_cbranch_vccz .LBB0_301
.LBB0_270:                              ;   in Loop: Header=BB0_195 Depth=1
	.loc	1 0 20                          ; attention_fwd.py:0:20
	v_dual_mov_b32 v196, 0 :: v_dual_mov_b32 v197, 0
	.loc	1 45 20                         ; attention_fwd.py:45:20
	s_and_not1_b32 vcc_lo, exec_lo, s59
	s_wait_alu depctr_sa_sdst(0)
	s_cbranch_vccz .LBB0_302
.LBB0_271:                              ;   in Loop: Header=BB0_195 Depth=1
	s_and_not1_b32 vcc_lo, exec_lo, s60
	s_wait_alu depctr_sa_sdst(0)
	s_cbranch_vccz .LBB0_303
.LBB0_272:                              ;   in Loop: Header=BB0_195 Depth=1
	.loc	1 0 20                          ; attention_fwd.py:0:20
	v_dual_mov_b32 v198, 0 :: v_dual_mov_b32 v199, 0
	.loc	1 45 20                         ; attention_fwd.py:45:20
	s_and_not1_b32 vcc_lo, exec_lo, s61
	s_wait_alu depctr_sa_sdst(0)
	s_cbranch_vccz .LBB0_304
.LBB0_273:                              ;   in Loop: Header=BB0_195 Depth=1
	s_and_not1_b32 vcc_lo, exec_lo, s62
	s_wait_alu depctr_sa_sdst(0)
	s_cbranch_vccz .LBB0_305
.LBB0_274:                              ;   in Loop: Header=BB0_195 Depth=1
	.loc	1 0 20                          ; attention_fwd.py:0:20
	v_dual_mov_b32 v200, 0 :: v_dual_mov_b32 v201, 0
	.loc	1 45 20                         ; attention_fwd.py:45:20
	s_and_not1_b32 vcc_lo, exec_lo, s63
	s_wait_alu depctr_sa_sdst(0)
	s_cbranch_vccz .LBB0_306
.LBB0_275:                              ;   in Loop: Header=BB0_195 Depth=1
	s_and_not1_b32 vcc_lo, exec_lo, s64
	s_wait_alu depctr_sa_sdst(0)
	s_cbranch_vccz .LBB0_307
.LBB0_276:                              ;   in Loop: Header=BB0_195 Depth=1
	.loc	1 0 20                          ; attention_fwd.py:0:20
	v_dual_mov_b32 v202, 0 :: v_dual_mov_b32 v203, 0
	.loc	1 45 20                         ; attention_fwd.py:45:20
	s_and_not1_b32 vcc_lo, exec_lo, s65
	s_wait_alu depctr_sa_sdst(0)
	s_cbranch_vccz .LBB0_308
.LBB0_277:                              ;   in Loop: Header=BB0_195 Depth=1
	s_and_not1_b32 vcc_lo, exec_lo, s66
	s_wait_alu depctr_sa_sdst(0)
	s_cbranch_vccz .LBB0_309
.LBB0_278:                              ;   in Loop: Header=BB0_195 Depth=1
	.loc	1 0 20                          ; attention_fwd.py:0:20
	v_dual_mov_b32 v204, 0 :: v_dual_mov_b32 v205, 0
	.loc	1 45 20                         ; attention_fwd.py:45:20
	s_and_not1_b32 vcc_lo, exec_lo, s67
	s_wait_alu depctr_sa_sdst(0)
	s_cbranch_vccz .LBB0_310
.LBB0_279:                              ;   in Loop: Header=BB0_195 Depth=1
	s_and_not1_b32 vcc_lo, exec_lo, s68
	s_wait_alu depctr_sa_sdst(0)
	s_cbranch_vccz .LBB0_311
.LBB0_280:                              ;   in Loop: Header=BB0_195 Depth=1
	.loc	1 0 20                          ; attention_fwd.py:0:20
	v_dual_mov_b32 v206, 0 :: v_dual_mov_b32 v207, 0
	.loc	1 45 20                         ; attention_fwd.py:45:20
	s_and_not1_b32 vcc_lo, exec_lo, s69
	s_wait_alu depctr_sa_sdst(0)
	s_cbranch_vccz .LBB0_312
.LBB0_281:                              ;   in Loop: Header=BB0_195 Depth=1
	s_and_not1_b32 vcc_lo, exec_lo, s70
	s_wait_alu depctr_sa_sdst(0)
	s_cbranch_vccz .LBB0_313
.LBB0_282:                              ;   in Loop: Header=BB0_195 Depth=1
	.loc	1 0 20                          ; attention_fwd.py:0:20
	v_dual_mov_b32 v208, 0 :: v_dual_mov_b32 v209, 0
	.loc	1 45 20                         ; attention_fwd.py:45:20
	s_and_not1_b32 vcc_lo, exec_lo, s71
	s_wait_alu depctr_sa_sdst(0)
	s_cbranch_vccz .LBB0_314
.LBB0_283:                              ;   in Loop: Header=BB0_195 Depth=1
	s_and_not1_b32 vcc_lo, exec_lo, s72
	s_wait_alu depctr_sa_sdst(0)
	s_cbranch_vccz .LBB0_315
.LBB0_284:                              ;   in Loop: Header=BB0_195 Depth=1
	.loc	1 0 20                          ; attention_fwd.py:0:20
	v_dual_mov_b32 v210, 0 :: v_dual_mov_b32 v211, 0
	.loc	1 45 20                         ; attention_fwd.py:45:20
	s_and_not1_b32 vcc_lo, exec_lo, s73
	s_wait_alu depctr_sa_sdst(0)
	s_cbranch_vccz .LBB0_316
.LBB0_285:                              ;   in Loop: Header=BB0_195 Depth=1
	s_and_not1_b32 vcc_lo, exec_lo, s74
	s_wait_alu depctr_sa_sdst(0)
	s_cbranch_vccz .LBB0_317
.LBB0_286:                              ;   in Loop: Header=BB0_195 Depth=1
	.loc	1 0 20                          ; attention_fwd.py:0:20
	v_dual_mov_b32 v212, 0 :: v_dual_mov_b32 v213, 0
	.loc	1 45 20                         ; attention_fwd.py:45:20
	s_and_not1_b32 vcc_lo, exec_lo, s75
	s_wait_alu depctr_sa_sdst(0)
	s_cbranch_vccz .LBB0_318
.LBB0_287:                              ;   in Loop: Header=BB0_195 Depth=1
	s_and_not1_b32 vcc_lo, exec_lo, s76
	s_wait_alu depctr_sa_sdst(0)
	s_cbranch_vccz .LBB0_319
.LBB0_288:                              ;   in Loop: Header=BB0_195 Depth=1
	.loc	1 0 20                          ; attention_fwd.py:0:20
	v_dual_mov_b32 v189, 0 :: v_dual_mov_b32 v214, 0
	.loc	1 45 20                         ; attention_fwd.py:45:20
	s_and_not1_b32 vcc_lo, exec_lo, s77
	s_wait_alu depctr_sa_sdst(0)
	s_cbranch_vccz .LBB0_320
.LBB0_289:                              ;   in Loop: Header=BB0_195 Depth=1
	s_and_not1_b32 vcc_lo, exec_lo, s78
	s_wait_alu depctr_sa_sdst(0)
	s_cbranch_vccz .LBB0_321
.LBB0_290:                              ;   in Loop: Header=BB0_195 Depth=1
	.loc	1 0 20                          ; attention_fwd.py:0:20
	v_mov_b32_e32 v193, 0
	.loc	1 45 20                         ; attention_fwd.py:45:20
	s_and_not1_b32 vcc_lo, exec_lo, s79
	s_wait_alu depctr_sa_sdst(0)
	s_cbranch_vccnz .LBB0_194
	s_branch .LBB0_322
.LBB0_291:                              ;   in Loop: Header=BB0_195 Depth=1
	.loc	1 0 20                          ; attention_fwd.py:0:20
	s_add_co_i32 s2, s43, s45
	s_wait_alu depctr_sa_sdst(0)
	s_ashr_i32 s3, s2, 31
	s_wait_alu depctr_sa_sdst(0)
	s_lshl_b64 s[2:3], s[2:3], 1
	s_wait_alu depctr_sa_sdst(0)
	v_add_co_u32 v34, vcc_lo, v112, s2
	s_wait_alu depctr_va_vcc(0)
	v_add_co_ci_u32_e64 v35, null, s3, v113, vcc_lo
	.loc	1 45 20                         ; attention_fwd.py:45:20
	global_load_u16 v151, v[34:35], off
	v_dual_mov_b32 v184, 0 :: v_dual_mov_b32 v185, 0
	s_and_not1_b32 vcc_lo, exec_lo, s48
	s_wait_alu depctr_sa_sdst(0)
	s_cbranch_vccnz .LBB0_261
.LBB0_292:                              ;   in Loop: Header=BB0_195 Depth=1
	.loc	1 44 39 is_stmt 1               ; attention_fwd.py:44:39
	s_add_co_i32 s2, vcc_hi, s45
	.loc	1 44 21 is_stmt 0               ; attention_fwd.py:44:21
	s_wait_alu depctr_sa_sdst(0)
	s_ashr_i32 s3, s2, 31
	.loc	1 44 51                         ; attention_fwd.py:44:51
	s_wait_alu depctr_sa_sdst(0)
	s_lshl_b64 s[2:3], s[2:3], 1
	s_wait_alu depctr_sa_sdst(0)
	v_add_co_u32 v34, vcc_lo, v112, s2
	s_wait_alu depctr_va_vcc(0)
	v_add_co_ci_u32_e64 v35, null, s3, v113, vcc_lo
	.loc	1 45 20 is_stmt 1               ; attention_fwd.py:45:20
	global_load_u16 v185, v[34:35], off
	s_and_not1_b32 vcc_lo, exec_lo, s50
	s_wait_alu depctr_sa_sdst(0)
	s_cbranch_vccnz .LBB0_262
.LBB0_293:                              ;   in Loop: Header=BB0_195 Depth=1
	.loc	1 44 39                         ; attention_fwd.py:44:39
	s_add_co_i32 s2, s103, s45
	.loc	1 44 21 is_stmt 0               ; attention_fwd.py:44:21
	s_wait_alu depctr_sa_sdst(0)
	s_ashr_i32 s3, s2, 31
	.loc	1 44 51                         ; attention_fwd.py:44:51
	s_wait_alu depctr_sa_sdst(0)
	s_lshl_b64 s[2:3], s[2:3], 1
	s_wait_alu depctr_sa_sdst(0)
	v_add_co_u32 v34, vcc_lo, v112, s2
	s_wait_alu depctr_va_vcc(0)
	v_add_co_ci_u32_e64 v35, null, s3, v113, vcc_lo
	.loc	1 45 20 is_stmt 1               ; attention_fwd.py:45:20
	global_load_u16 v184, v[34:35], off
	v_dual_mov_b32 v186, 0 :: v_dual_mov_b32 v187, 0
	s_and_not1_b32 vcc_lo, exec_lo, s51
	s_wait_alu depctr_sa_sdst(0)
	s_cbranch_vccnz .LBB0_263
.LBB0_294:                              ;   in Loop: Header=BB0_195 Depth=1
	.loc	1 44 39                         ; attention_fwd.py:44:39
	s_add_co_i32 s2, s101, s45
	.loc	1 44 21 is_stmt 0               ; attention_fwd.py:44:21
	s_wait_alu depctr_sa_sdst(0)
	s_ashr_i32 s3, s2, 31
	.loc	1 44 51                         ; attention_fwd.py:44:51
	s_wait_alu depctr_sa_sdst(0)
	s_lshl_b64 s[2:3], s[2:3], 1
	s_wait_alu depctr_sa_sdst(0)
	v_add_co_u32 v34, vcc_lo, v112, s2
	s_wait_alu depctr_va_vcc(0)
	v_add_co_ci_u32_e64 v35, null, s3, v113, vcc_lo
	.loc	1 45 20 is_stmt 1               ; attention_fwd.py:45:20
	global_load_u16 v187, v[34:35], off
	s_and_not1_b32 vcc_lo, exec_lo, s52
	s_wait_alu depctr_sa_sdst(0)
	s_cbranch_vccnz .LBB0_264
.LBB0_295:                              ;   in Loop: Header=BB0_195 Depth=1
	.loc	1 44 39                         ; attention_fwd.py:44:39
	s_add_co_i32 s2, s99, s45
	.loc	1 44 21 is_stmt 0               ; attention_fwd.py:44:21
	s_wait_alu depctr_sa_sdst(0)
	s_ashr_i32 s3, s2, 31
	.loc	1 44 51                         ; attention_fwd.py:44:51
	s_wait_alu depctr_sa_sdst(0)
	s_lshl_b64 s[2:3], s[2:3], 1
	s_wait_alu depctr_sa_sdst(0)
	v_add_co_u32 v34, vcc_lo, v112, s2
	s_wait_alu depctr_va_vcc(0)
	v_add_co_ci_u32_e64 v35, null, s3, v113, vcc_lo
	.loc	1 45 20 is_stmt 1               ; attention_fwd.py:45:20
	global_load_u16 v186, v[34:35], off
	v_mov_b32_e32 v188, 0
	v_mov_b32_e32 v190, 0
	s_and_not1_b32 vcc_lo, exec_lo, s53
	s_wait_alu depctr_sa_sdst(0)
	s_cbranch_vccnz .LBB0_265
.LBB0_296:                              ;   in Loop: Header=BB0_195 Depth=1
	.loc	1 44 39                         ; attention_fwd.py:44:39
	s_add_co_i32 s2, s97, s45
	.loc	1 44 21 is_stmt 0               ; attention_fwd.py:44:21
	s_wait_alu depctr_sa_sdst(0)
	s_ashr_i32 s3, s2, 31
	.loc	1 44 51                         ; attention_fwd.py:44:51
	s_wait_alu depctr_sa_sdst(0)
	s_lshl_b64 s[2:3], s[2:3], 1
	s_wait_alu depctr_sa_sdst(0)
	v_add_co_u32 v34, vcc_lo, v112, s2
	s_wait_alu depctr_va_vcc(0)
	v_add_co_ci_u32_e64 v35, null, s3, v113, vcc_lo
	.loc	1 45 20 is_stmt 1               ; attention_fwd.py:45:20
	global_load_u16 v190, v[34:35], off
	s_and_not1_b32 vcc_lo, exec_lo, s54
	s_wait_alu depctr_sa_sdst(0)
	s_cbranch_vccnz .LBB0_266
.LBB0_297:                              ;   in Loop: Header=BB0_195 Depth=1
	.loc	1 44 39                         ; attention_fwd.py:44:39
	s_add_co_i32 s2, s95, s45
	.loc	1 44 21 is_stmt 0               ; attention_fwd.py:44:21
	s_wait_alu depctr_sa_sdst(0)
	s_ashr_i32 s3, s2, 31
	.loc	1 44 51                         ; attention_fwd.py:44:51
	s_wait_alu depctr_sa_sdst(0)
	s_lshl_b64 s[2:3], s[2:3], 1
	s_wait_alu depctr_sa_sdst(0)
	v_add_co_u32 v34, vcc_lo, v112, s2
	s_wait_alu depctr_va_vcc(0)
	v_add_co_ci_u32_e64 v35, null, s3, v113, vcc_lo
	.loc	1 45 20 is_stmt 1               ; attention_fwd.py:45:20
	global_load_u16 v188, v[34:35], off
	v_dual_mov_b32 v191, 0 :: v_dual_mov_b32 v192, 0
	s_and_not1_b32 vcc_lo, exec_lo, s55
	s_wait_alu depctr_sa_sdst(0)
	s_cbranch_vccnz .LBB0_267
.LBB0_298:                              ;   in Loop: Header=BB0_195 Depth=1
	.loc	1 44 39                         ; attention_fwd.py:44:39
	s_add_co_i32 s2, s93, s45
	.loc	1 44 21 is_stmt 0               ; attention_fwd.py:44:21
	s_wait_alu depctr_sa_sdst(0)
	s_ashr_i32 s3, s2, 31
	.loc	1 44 51                         ; attention_fwd.py:44:51
	s_wait_alu depctr_sa_sdst(0)
	s_lshl_b64 s[2:3], s[2:3], 1
	s_wait_alu depctr_sa_sdst(0)
	v_add_co_u32 v34, vcc_lo, v112, s2
	s_wait_alu depctr_va_vcc(0)
	v_add_co_ci_u32_e64 v35, null, s3, v113, vcc_lo
	.loc	1 45 20 is_stmt 1               ; attention_fwd.py:45:20
	global_load_u16 v192, v[34:35], off
	s_and_not1_b32 vcc_lo, exec_lo, s56
	s_wait_alu depctr_sa_sdst(0)
	s_cbranch_vccnz .LBB0_268
.LBB0_299:                              ;   in Loop: Header=BB0_195 Depth=1
	.loc	1 44 39                         ; attention_fwd.py:44:39
	s_add_co_i32 s2, s91, s45
	.loc	1 44 21 is_stmt 0               ; attention_fwd.py:44:21
	s_wait_alu depctr_sa_sdst(0)
	s_ashr_i32 s3, s2, 31
	.loc	1 44 51                         ; attention_fwd.py:44:51
	s_wait_alu depctr_sa_sdst(0)
	s_lshl_b64 s[2:3], s[2:3], 1
	s_wait_alu depctr_sa_sdst(0)
	v_add_co_u32 v34, vcc_lo, v112, s2
	s_wait_alu depctr_va_vcc(0)
	v_add_co_ci_u32_e64 v35, null, s3, v113, vcc_lo
	.loc	1 45 20 is_stmt 1               ; attention_fwd.py:45:20
	global_load_u16 v191, v[34:35], off
	v_dual_mov_b32 v194, 0 :: v_dual_mov_b32 v195, 0
	s_and_not1_b32 vcc_lo, exec_lo, s57
	s_wait_alu depctr_sa_sdst(0)
	s_cbranch_vccnz .LBB0_269
.LBB0_300:                              ;   in Loop: Header=BB0_195 Depth=1
	.loc	1 44 39                         ; attention_fwd.py:44:39
	s_add_co_i32 s2, s89, s45
	.loc	1 44 21 is_stmt 0               ; attention_fwd.py:44:21
	s_wait_alu depctr_sa_sdst(0)
	s_ashr_i32 s3, s2, 31
	.loc	1 44 51                         ; attention_fwd.py:44:51
	s_wait_alu depctr_sa_sdst(0)
	s_lshl_b64 s[2:3], s[2:3], 1
	s_wait_alu depctr_sa_sdst(0)
	v_add_co_u32 v34, vcc_lo, v112, s2
	s_wait_alu depctr_va_vcc(0)
	v_add_co_ci_u32_e64 v35, null, s3, v113, vcc_lo
	.loc	1 45 20 is_stmt 1               ; attention_fwd.py:45:20
	global_load_u16 v195, v[34:35], off
	s_and_not1_b32 vcc_lo, exec_lo, s58
	s_wait_alu depctr_sa_sdst(0)
	s_cbranch_vccnz .LBB0_270
.LBB0_301:                              ;   in Loop: Header=BB0_195 Depth=1
	.loc	1 44 39                         ; attention_fwd.py:44:39
	s_add_co_i32 s2, s87, s45
	.loc	1 44 21 is_stmt 0               ; attention_fwd.py:44:21
	s_wait_alu depctr_sa_sdst(0)
	s_ashr_i32 s3, s2, 31
	.loc	1 44 51                         ; attention_fwd.py:44:51
	s_wait_alu depctr_sa_sdst(0)
	s_lshl_b64 s[2:3], s[2:3], 1
	s_wait_alu depctr_sa_sdst(0)
	v_add_co_u32 v34, vcc_lo, v112, s2
	s_wait_alu depctr_va_vcc(0)
	v_add_co_ci_u32_e64 v35, null, s3, v113, vcc_lo
	.loc	1 45 20 is_stmt 1               ; attention_fwd.py:45:20
	global_load_u16 v194, v[34:35], off
	v_dual_mov_b32 v196, 0 :: v_dual_mov_b32 v197, 0
	s_and_not1_b32 vcc_lo, exec_lo, s59
	s_wait_alu depctr_sa_sdst(0)
	s_cbranch_vccnz .LBB0_271
.LBB0_302:                              ;   in Loop: Header=BB0_195 Depth=1
	.loc	1 44 39                         ; attention_fwd.py:44:39
	s_add_co_i32 s2, s85, s45
	.loc	1 44 21 is_stmt 0               ; attention_fwd.py:44:21
	s_wait_alu depctr_sa_sdst(0)
	s_ashr_i32 s3, s2, 31
	.loc	1 44 51                         ; attention_fwd.py:44:51
	s_wait_alu depctr_sa_sdst(0)
	s_lshl_b64 s[2:3], s[2:3], 1
	s_wait_alu depctr_sa_sdst(0)
	v_add_co_u32 v34, vcc_lo, v112, s2
	s_wait_alu depctr_va_vcc(0)
	v_add_co_ci_u32_e64 v35, null, s3, v113, vcc_lo
	.loc	1 45 20 is_stmt 1               ; attention_fwd.py:45:20
	global_load_u16 v197, v[34:35], off
	s_and_not1_b32 vcc_lo, exec_lo, s60
	s_wait_alu depctr_sa_sdst(0)
	s_cbranch_vccnz .LBB0_272
.LBB0_303:                              ;   in Loop: Header=BB0_195 Depth=1
	.loc	1 44 39                         ; attention_fwd.py:44:39
	s_add_co_i32 s2, s83, s45
	.loc	1 44 21 is_stmt 0               ; attention_fwd.py:44:21
	s_wait_alu depctr_sa_sdst(0)
	s_ashr_i32 s3, s2, 31
	.loc	1 44 51                         ; attention_fwd.py:44:51
	s_wait_alu depctr_sa_sdst(0)
	s_lshl_b64 s[2:3], s[2:3], 1
	s_wait_alu depctr_sa_sdst(0)
	v_add_co_u32 v34, vcc_lo, v112, s2
	s_wait_alu depctr_va_vcc(0)
	v_add_co_ci_u32_e64 v35, null, s3, v113, vcc_lo
	.loc	1 45 20 is_stmt 1               ; attention_fwd.py:45:20
	global_load_u16 v196, v[34:35], off
	v_dual_mov_b32 v198, 0 :: v_dual_mov_b32 v199, 0
	s_and_not1_b32 vcc_lo, exec_lo, s61
	s_wait_alu depctr_sa_sdst(0)
	s_cbranch_vccnz .LBB0_273
.LBB0_304:                              ;   in Loop: Header=BB0_195 Depth=1
	.loc	1 44 39                         ; attention_fwd.py:44:39
	s_add_co_i32 s2, s81, s45
	.loc	1 44 21 is_stmt 0               ; attention_fwd.py:44:21
	s_wait_alu depctr_sa_sdst(0)
	s_ashr_i32 s3, s2, 31
	.loc	1 44 51                         ; attention_fwd.py:44:51
	s_wait_alu depctr_sa_sdst(0)
	s_lshl_b64 s[2:3], s[2:3], 1
	s_wait_alu depctr_sa_sdst(0)
	v_add_co_u32 v34, vcc_lo, v112, s2
	s_wait_alu depctr_va_vcc(0)
	v_add_co_ci_u32_e64 v35, null, s3, v113, vcc_lo
	.loc	1 45 20 is_stmt 1               ; attention_fwd.py:45:20
	global_load_u16 v199, v[34:35], off
	s_and_not1_b32 vcc_lo, exec_lo, s62
	s_wait_alu depctr_sa_sdst(0)
	s_cbranch_vccnz .LBB0_274
.LBB0_305:                              ;   in Loop: Header=BB0_195 Depth=1
	.loc	1 44 39                         ; attention_fwd.py:44:39
	v_readlane_b32 s2, v229, 5
	s_add_co_i32 s2, s2, s45
	.loc	1 44 21 is_stmt 0               ; attention_fwd.py:44:21
	s_wait_alu depctr_sa_sdst(0)
	s_ashr_i32 s3, s2, 31
	.loc	1 44 51                         ; attention_fwd.py:44:51
	s_wait_alu depctr_sa_sdst(0)
	s_lshl_b64 s[2:3], s[2:3], 1
	s_wait_alu depctr_sa_sdst(0)
	v_add_co_u32 v34, vcc_lo, v112, s2
	s_wait_alu depctr_va_vcc(0)
	v_add_co_ci_u32_e64 v35, null, s3, v113, vcc_lo
	.loc	1 45 20 is_stmt 1               ; attention_fwd.py:45:20
	global_load_u16 v198, v[34:35], off
	v_dual_mov_b32 v200, 0 :: v_dual_mov_b32 v201, 0
	s_and_not1_b32 vcc_lo, exec_lo, s63
	s_wait_alu depctr_sa_sdst(0)
	s_cbranch_vccnz .LBB0_275
.LBB0_306:                              ;   in Loop: Header=BB0_195 Depth=1
	.loc	1 44 39                         ; attention_fwd.py:44:39
	v_readlane_b32 s2, v229, 3
	s_add_co_i32 s2, s2, s45
	.loc	1 44 21 is_stmt 0               ; attention_fwd.py:44:21
	s_wait_alu depctr_sa_sdst(0)
	s_ashr_i32 s3, s2, 31
	.loc	1 44 51                         ; attention_fwd.py:44:51
	s_wait_alu depctr_sa_sdst(0)
	s_lshl_b64 s[2:3], s[2:3], 1
	s_wait_alu depctr_sa_sdst(0)
	v_add_co_u32 v34, vcc_lo, v112, s2
	s_wait_alu depctr_va_vcc(0)
	v_add_co_ci_u32_e64 v35, null, s3, v113, vcc_lo
	.loc	1 45 20 is_stmt 1               ; attention_fwd.py:45:20
	global_load_u16 v201, v[34:35], off
	s_and_not1_b32 vcc_lo, exec_lo, s64
	s_wait_alu depctr_sa_sdst(0)
	s_cbranch_vccnz .LBB0_276
.LBB0_307:                              ;   in Loop: Header=BB0_195 Depth=1
	.loc	1 44 39                         ; attention_fwd.py:44:39
	v_readlane_b32 s2, v229, 1
	s_add_co_i32 s2, s2, s45
	.loc	1 44 21 is_stmt 0               ; attention_fwd.py:44:21
	s_wait_alu depctr_sa_sdst(0)
	s_ashr_i32 s3, s2, 31
	.loc	1 44 51                         ; attention_fwd.py:44:51
	s_wait_alu depctr_sa_sdst(0)
	s_lshl_b64 s[2:3], s[2:3], 1
	s_wait_alu depctr_sa_sdst(0)
	v_add_co_u32 v34, vcc_lo, v112, s2
	s_wait_alu depctr_va_vcc(0)
	v_add_co_ci_u32_e64 v35, null, s3, v113, vcc_lo
	.loc	1 45 20 is_stmt 1               ; attention_fwd.py:45:20
	global_load_u16 v200, v[34:35], off
	v_dual_mov_b32 v202, 0 :: v_dual_mov_b32 v203, 0
	s_and_not1_b32 vcc_lo, exec_lo, s65
	s_wait_alu depctr_sa_sdst(0)
	s_cbranch_vccnz .LBB0_277
.LBB0_308:                              ;   in Loop: Header=BB0_195 Depth=1
	.loc	1 44 39                         ; attention_fwd.py:44:39
	v_readlane_b32 s2, v230, 31
	s_add_co_i32 s2, s2, s45
	.loc	1 44 21 is_stmt 0               ; attention_fwd.py:44:21
	s_wait_alu depctr_sa_sdst(0)
	s_ashr_i32 s3, s2, 31
	.loc	1 44 51                         ; attention_fwd.py:44:51
	s_wait_alu depctr_sa_sdst(0)
	s_lshl_b64 s[2:3], s[2:3], 1
	s_wait_alu depctr_sa_sdst(0)
	v_add_co_u32 v34, vcc_lo, v112, s2
	s_wait_alu depctr_va_vcc(0)
	v_add_co_ci_u32_e64 v35, null, s3, v113, vcc_lo
	.loc	1 45 20 is_stmt 1               ; attention_fwd.py:45:20
	global_load_u16 v203, v[34:35], off
	s_and_not1_b32 vcc_lo, exec_lo, s66
	s_wait_alu depctr_sa_sdst(0)
	s_cbranch_vccnz .LBB0_278
.LBB0_309:                              ;   in Loop: Header=BB0_195 Depth=1
	.loc	1 44 39                         ; attention_fwd.py:44:39
	v_readlane_b32 s2, v230, 29
	s_add_co_i32 s2, s2, s45
	.loc	1 44 21 is_stmt 0               ; attention_fwd.py:44:21
	s_wait_alu depctr_sa_sdst(0)
	s_ashr_i32 s3, s2, 31
	.loc	1 44 51                         ; attention_fwd.py:44:51
	s_wait_alu depctr_sa_sdst(0)
	s_lshl_b64 s[2:3], s[2:3], 1
	s_wait_alu depctr_sa_sdst(0)
	v_add_co_u32 v34, vcc_lo, v112, s2
	s_wait_alu depctr_va_vcc(0)
	v_add_co_ci_u32_e64 v35, null, s3, v113, vcc_lo
	.loc	1 45 20 is_stmt 1               ; attention_fwd.py:45:20
	global_load_u16 v202, v[34:35], off
	v_dual_mov_b32 v204, 0 :: v_dual_mov_b32 v205, 0
	s_and_not1_b32 vcc_lo, exec_lo, s67
	s_wait_alu depctr_sa_sdst(0)
	s_cbranch_vccnz .LBB0_279
.LBB0_310:                              ;   in Loop: Header=BB0_195 Depth=1
	.loc	1 44 39                         ; attention_fwd.py:44:39
	v_readlane_b32 s2, v230, 27
	s_add_co_i32 s2, s2, s45
	.loc	1 44 21 is_stmt 0               ; attention_fwd.py:44:21
	s_wait_alu depctr_sa_sdst(0)
	s_ashr_i32 s3, s2, 31
	.loc	1 44 51                         ; attention_fwd.py:44:51
	s_wait_alu depctr_sa_sdst(0)
	s_lshl_b64 s[2:3], s[2:3], 1
	s_wait_alu depctr_sa_sdst(0)
	v_add_co_u32 v34, vcc_lo, v112, s2
	s_wait_alu depctr_va_vcc(0)
	v_add_co_ci_u32_e64 v35, null, s3, v113, vcc_lo
	.loc	1 45 20 is_stmt 1               ; attention_fwd.py:45:20
	global_load_u16 v205, v[34:35], off
	s_and_not1_b32 vcc_lo, exec_lo, s68
	s_wait_alu depctr_sa_sdst(0)
	s_cbranch_vccnz .LBB0_280
.LBB0_311:                              ;   in Loop: Header=BB0_195 Depth=1
	.loc	1 44 39                         ; attention_fwd.py:44:39
	v_readlane_b32 s2, v230, 25
	s_add_co_i32 s2, s2, s45
	.loc	1 44 21 is_stmt 0               ; attention_fwd.py:44:21
	s_wait_alu depctr_sa_sdst(0)
	s_ashr_i32 s3, s2, 31
	.loc	1 44 51                         ; attention_fwd.py:44:51
	s_wait_alu depctr_sa_sdst(0)
	s_lshl_b64 s[2:3], s[2:3], 1
	s_wait_alu depctr_sa_sdst(0)
	v_add_co_u32 v34, vcc_lo, v112, s2
	s_wait_alu depctr_va_vcc(0)
	v_add_co_ci_u32_e64 v35, null, s3, v113, vcc_lo
	.loc	1 45 20 is_stmt 1               ; attention_fwd.py:45:20
	global_load_u16 v204, v[34:35], off
	v_dual_mov_b32 v206, 0 :: v_dual_mov_b32 v207, 0
	s_and_not1_b32 vcc_lo, exec_lo, s69
	s_wait_alu depctr_sa_sdst(0)
	s_cbranch_vccnz .LBB0_281
.LBB0_312:                              ;   in Loop: Header=BB0_195 Depth=1
	.loc	1 44 39                         ; attention_fwd.py:44:39
	v_readlane_b32 s2, v230, 23
	s_add_co_i32 s2, s2, s45
	.loc	1 44 21 is_stmt 0               ; attention_fwd.py:44:21
	s_wait_alu depctr_sa_sdst(0)
	s_ashr_i32 s3, s2, 31
	.loc	1 44 51                         ; attention_fwd.py:44:51
	s_wait_alu depctr_sa_sdst(0)
	s_lshl_b64 s[2:3], s[2:3], 1
	s_wait_alu depctr_sa_sdst(0)
	v_add_co_u32 v34, vcc_lo, v112, s2
	s_wait_alu depctr_va_vcc(0)
	v_add_co_ci_u32_e64 v35, null, s3, v113, vcc_lo
	.loc	1 45 20 is_stmt 1               ; attention_fwd.py:45:20
	global_load_u16 v207, v[34:35], off
	s_and_not1_b32 vcc_lo, exec_lo, s70
	s_wait_alu depctr_sa_sdst(0)
	s_cbranch_vccnz .LBB0_282
.LBB0_313:                              ;   in Loop: Header=BB0_195 Depth=1
	.loc	1 44 39                         ; attention_fwd.py:44:39
	v_readlane_b32 s2, v230, 21
	s_add_co_i32 s2, s2, s45
	.loc	1 44 21 is_stmt 0               ; attention_fwd.py:44:21
	s_wait_alu depctr_sa_sdst(0)
	s_ashr_i32 s3, s2, 31
	.loc	1 44 51                         ; attention_fwd.py:44:51
	s_wait_alu depctr_sa_sdst(0)
	s_lshl_b64 s[2:3], s[2:3], 1
	s_wait_alu depctr_sa_sdst(0)
	v_add_co_u32 v34, vcc_lo, v112, s2
	s_wait_alu depctr_va_vcc(0)
	v_add_co_ci_u32_e64 v35, null, s3, v113, vcc_lo
	.loc	1 45 20 is_stmt 1               ; attention_fwd.py:45:20
	global_load_u16 v206, v[34:35], off
	v_dual_mov_b32 v208, 0 :: v_dual_mov_b32 v209, 0
	s_and_not1_b32 vcc_lo, exec_lo, s71
	s_wait_alu depctr_sa_sdst(0)
	s_cbranch_vccnz .LBB0_283
.LBB0_314:                              ;   in Loop: Header=BB0_195 Depth=1
	.loc	1 44 39                         ; attention_fwd.py:44:39
	v_readlane_b32 s2, v230, 19
	s_add_co_i32 s2, s2, s45
	.loc	1 44 21 is_stmt 0               ; attention_fwd.py:44:21
	s_wait_alu depctr_sa_sdst(0)
	s_ashr_i32 s3, s2, 31
	.loc	1 44 51                         ; attention_fwd.py:44:51
	s_wait_alu depctr_sa_sdst(0)
	s_lshl_b64 s[2:3], s[2:3], 1
	s_wait_alu depctr_sa_sdst(0)
	v_add_co_u32 v34, vcc_lo, v112, s2
	s_wait_alu depctr_va_vcc(0)
	v_add_co_ci_u32_e64 v35, null, s3, v113, vcc_lo
	.loc	1 45 20 is_stmt 1               ; attention_fwd.py:45:20
	global_load_u16 v209, v[34:35], off
	s_and_not1_b32 vcc_lo, exec_lo, s72
	s_wait_alu depctr_sa_sdst(0)
	s_cbranch_vccnz .LBB0_284
.LBB0_315:                              ;   in Loop: Header=BB0_195 Depth=1
	.loc	1 44 39                         ; attention_fwd.py:44:39
	v_readlane_b32 s2, v230, 17
	s_add_co_i32 s2, s2, s45
	.loc	1 44 21 is_stmt 0               ; attention_fwd.py:44:21
	s_wait_alu depctr_sa_sdst(0)
	s_ashr_i32 s3, s2, 31
	.loc	1 44 51                         ; attention_fwd.py:44:51
	s_wait_alu depctr_sa_sdst(0)
	s_lshl_b64 s[2:3], s[2:3], 1
	s_wait_alu depctr_sa_sdst(0)
	v_add_co_u32 v34, vcc_lo, v112, s2
	s_wait_alu depctr_va_vcc(0)
	v_add_co_ci_u32_e64 v35, null, s3, v113, vcc_lo
	.loc	1 45 20 is_stmt 1               ; attention_fwd.py:45:20
	global_load_u16 v208, v[34:35], off
	v_dual_mov_b32 v210, 0 :: v_dual_mov_b32 v211, 0
	s_and_not1_b32 vcc_lo, exec_lo, s73
	s_wait_alu depctr_sa_sdst(0)
	s_cbranch_vccnz .LBB0_285
.LBB0_316:                              ;   in Loop: Header=BB0_195 Depth=1
	.loc	1 44 39                         ; attention_fwd.py:44:39
	v_readlane_b32 s2, v230, 15
	s_add_co_i32 s2, s2, s45
	.loc	1 44 21 is_stmt 0               ; attention_fwd.py:44:21
	s_wait_alu depctr_sa_sdst(0)
	s_ashr_i32 s3, s2, 31
	.loc	1 44 51                         ; attention_fwd.py:44:51
	s_wait_alu depctr_sa_sdst(0)
	s_lshl_b64 s[2:3], s[2:3], 1
	s_wait_alu depctr_sa_sdst(0)
	v_add_co_u32 v34, vcc_lo, v112, s2
	s_wait_alu depctr_va_vcc(0)
	v_add_co_ci_u32_e64 v35, null, s3, v113, vcc_lo
	.loc	1 45 20 is_stmt 1               ; attention_fwd.py:45:20
	global_load_u16 v211, v[34:35], off
	s_and_not1_b32 vcc_lo, exec_lo, s74
	s_wait_alu depctr_sa_sdst(0)
	s_cbranch_vccnz .LBB0_286
.LBB0_317:                              ;   in Loop: Header=BB0_195 Depth=1
	.loc	1 44 39                         ; attention_fwd.py:44:39
	v_readlane_b32 s2, v230, 13
	s_add_co_i32 s2, s2, s45
	.loc	1 44 21 is_stmt 0               ; attention_fwd.py:44:21
	s_wait_alu depctr_sa_sdst(0)
	s_ashr_i32 s3, s2, 31
	.loc	1 44 51                         ; attention_fwd.py:44:51
	s_wait_alu depctr_sa_sdst(0)
	s_lshl_b64 s[2:3], s[2:3], 1
	s_wait_alu depctr_sa_sdst(0)
	v_add_co_u32 v34, vcc_lo, v112, s2
	s_wait_alu depctr_va_vcc(0)
	v_add_co_ci_u32_e64 v35, null, s3, v113, vcc_lo
	.loc	1 45 20 is_stmt 1               ; attention_fwd.py:45:20
	global_load_u16 v210, v[34:35], off
	v_dual_mov_b32 v212, 0 :: v_dual_mov_b32 v213, 0
	s_and_not1_b32 vcc_lo, exec_lo, s75
	s_wait_alu depctr_sa_sdst(0)
	s_cbranch_vccnz .LBB0_287
.LBB0_318:                              ;   in Loop: Header=BB0_195 Depth=1
	.loc	1 44 39                         ; attention_fwd.py:44:39
	v_readlane_b32 s2, v230, 11
	s_add_co_i32 s2, s2, s45
	.loc	1 44 21 is_stmt 0               ; attention_fwd.py:44:21
	s_wait_alu depctr_sa_sdst(0)
	s_ashr_i32 s3, s2, 31
	.loc	1 44 51                         ; attention_fwd.py:44:51
	s_wait_alu depctr_sa_sdst(0)
	s_lshl_b64 s[2:3], s[2:3], 1
	s_wait_alu depctr_sa_sdst(0)
	v_add_co_u32 v34, vcc_lo, v112, s2
	s_wait_alu depctr_va_vcc(0)
	v_add_co_ci_u32_e64 v35, null, s3, v113, vcc_lo
	.loc	1 45 20 is_stmt 1               ; attention_fwd.py:45:20
	global_load_u16 v213, v[34:35], off
	s_and_not1_b32 vcc_lo, exec_lo, s76
	s_wait_alu depctr_sa_sdst(0)
	s_cbranch_vccnz .LBB0_288
.LBB0_319:                              ;   in Loop: Header=BB0_195 Depth=1
	.loc	1 44 39                         ; attention_fwd.py:44:39
	v_readlane_b32 s2, v230, 9
	s_add_co_i32 s2, s2, s45
	.loc	1 44 21 is_stmt 0               ; attention_fwd.py:44:21
	s_wait_alu depctr_sa_sdst(0)
	s_ashr_i32 s3, s2, 31
	.loc	1 44 51                         ; attention_fwd.py:44:51
	s_wait_alu depctr_sa_sdst(0)
	s_lshl_b64 s[2:3], s[2:3], 1
	s_wait_alu depctr_sa_sdst(0)
	v_add_co_u32 v34, vcc_lo, v112, s2
	s_wait_alu depctr_va_vcc(0)
	v_add_co_ci_u32_e64 v35, null, s3, v113, vcc_lo
	.loc	1 45 20 is_stmt 1               ; attention_fwd.py:45:20
	global_load_u16 v212, v[34:35], off
	v_dual_mov_b32 v189, 0 :: v_dual_mov_b32 v214, 0
	s_and_not1_b32 vcc_lo, exec_lo, s77
	s_wait_alu depctr_sa_sdst(0)
	s_cbranch_vccnz .LBB0_289
.LBB0_320:                              ;   in Loop: Header=BB0_195 Depth=1
	.loc	1 44 39                         ; attention_fwd.py:44:39
	v_readlane_b32 s2, v230, 7
	s_add_co_i32 s2, s2, s45
	.loc	1 44 21 is_stmt 0               ; attention_fwd.py:44:21
	s_wait_alu depctr_sa_sdst(0)
	s_ashr_i32 s3, s2, 31
	.loc	1 44 51                         ; attention_fwd.py:44:51
	s_wait_alu depctr_sa_sdst(0)
	s_lshl_b64 s[2:3], s[2:3], 1
	s_wait_alu depctr_sa_sdst(0)
	v_add_co_u32 v34, vcc_lo, v112, s2
	s_wait_alu depctr_va_vcc(0)
	v_add_co_ci_u32_e64 v35, null, s3, v113, vcc_lo
	.loc	1 45 20 is_stmt 1               ; attention_fwd.py:45:20
	global_load_u16 v214, v[34:35], off
	s_and_not1_b32 vcc_lo, exec_lo, s78
	s_wait_alu depctr_sa_sdst(0)
	s_cbranch_vccnz .LBB0_290
.LBB0_321:                              ;   in Loop: Header=BB0_195 Depth=1
	.loc	1 44 39                         ; attention_fwd.py:44:39
	v_readlane_b32 s2, v230, 5
	s_add_co_i32 s2, s2, s45
	.loc	1 44 21 is_stmt 0               ; attention_fwd.py:44:21
	s_wait_alu depctr_sa_sdst(0)
	s_ashr_i32 s3, s2, 31
	.loc	1 44 51                         ; attention_fwd.py:44:51
	s_wait_alu depctr_sa_sdst(0)
	s_lshl_b64 s[2:3], s[2:3], 1
	s_wait_alu depctr_sa_sdst(0)
	v_add_co_u32 v34, vcc_lo, v112, s2
	s_wait_alu depctr_va_vcc(0)
	v_add_co_ci_u32_e64 v35, null, s3, v113, vcc_lo
	.loc	1 45 20 is_stmt 1               ; attention_fwd.py:45:20
	global_load_u16 v189, v[34:35], off
	v_mov_b32_e32 v193, 0
	s_and_not1_b32 vcc_lo, exec_lo, s79
	s_wait_alu depctr_sa_sdst(0)
	s_cbranch_vccnz .LBB0_194
.LBB0_322:                              ;   in Loop: Header=BB0_195 Depth=1
	.loc	1 44 21                         ; attention_fwd.py:44:21
	v_readlane_b32 s2, v230, 3
	s_add_co_i32 s2, s2, s45
	s_wait_alu depctr_sa_sdst(0)
	s_ashr_i32 s3, s2, 31
	.loc	1 44 51 is_stmt 0               ; attention_fwd.py:44:51
	s_wait_alu depctr_sa_sdst(0)
	s_lshl_b64 s[2:3], s[2:3], 1
	s_wait_alu depctr_sa_sdst(0)
	v_add_co_u32 v34, vcc_lo, v112, s2
	s_wait_alu depctr_va_vcc(0)
	v_add_co_ci_u32_e64 v35, null, s3, v113, vcc_lo
	.loc	1 45 20 is_stmt 1               ; attention_fwd.py:45:20
	global_load_u16 v193, v[34:35], off
	s_branch .LBB0_194
.LBB0_323:                              ; %Flow
	.loc	1 0 20 is_stmt 0                ; attention_fwd.py:0:20
	v_readlane_b32 s48, v230, 0
	v_dual_mov_b32 v63, v150 :: v_dual_mov_b32 v62, v149
	v_dual_mov_b32 v81, v148 :: v_dual_mov_b32 v80, v146
	;; [unrolled: 1-line block ×15, first 2 shown]
	v_mov_b32_e32 v32, v121
	v_mov_b32_e32 v34, v119
	v_readlane_b32 s46, v230, 2
	v_readlane_b32 s49, v230, 1
	s_branch .LBB0_325
.LBB0_324:
	v_dual_mov_b32 v31, 0 :: v_dual_mov_b32 v118, 0xff800000
	s_delay_alu instid0(VALU_DEP_1)
	v_dual_mov_b32 v30, v31 :: v_dual_mov_b32 v29, v31
	v_dual_mov_b32 v28, v31 :: v_dual_mov_b32 v27, v31
	;; [unrolled: 1-line block ×16, first 2 shown]
.LBB0_325:                              ; %Flow417
	s_load_b64 s[4:5], s[48:49], 0x3c
	.loc	1 35 32 is_stmt 1               ; attention_fwd.py:35:32
	ds_store_b16 v102, v34 offset:8192
	ds_store_b16 v102, v40 offset:9216
	;; [unrolled: 1-line block ×32, first 2 shown]
	s_wait_loadcnt_dscnt 0x0
	s_barrier_signal -1
	.loc	1 31 32                         ; attention_fwd.py:31:32
	s_add_co_i32 s1, s34, 63
	v_dual_mov_b32 v32, 0 :: v_dual_mov_b32 v33, 0
	s_wait_alu depctr_sa_sdst(0)
	s_ashr_i32 s0, s1, 31
	v_dual_mov_b32 v34, 0 :: v_dual_mov_b32 v35, 0
	s_wait_alu depctr_sa_sdst(0)
	s_lshr_b32 s0, s0, 26
	v_dual_mov_b32 v36, 0 :: v_dual_mov_b32 v37, 0
	s_wait_alu depctr_sa_sdst(0)
	s_add_co_i32 s0, s1, s0
	v_dual_mov_b32 v38, 0 :: v_dual_mov_b32 v39, 0
	s_wait_alu depctr_sa_sdst(0)
	s_ashr_i32 s0, s0, 6
	v_dual_mov_b32 v40, 0 :: v_dual_mov_b32 v41, 0
	s_wait_alu depctr_sa_sdst(0)
	s_max_i32 s0, s0, 1
	v_dual_mov_b32 v42, 0 :: v_dual_mov_b32 v43, 0
	v_dual_mov_b32 v44, 0 :: v_dual_mov_b32 v45, 0
	;; [unrolled: 1-line block ×11, first 2 shown]
	s_cmp_gt_i32 s1, 63
	.loc	1 35 32                         ; attention_fwd.py:35:32
	s_barrier_wait -1
	.loc	1 31 32                         ; attention_fwd.py:31:32
	s_cselect_b32 s3, -1, 0
	s_cmp_lt_i32 s1, 64
	.loc	1 35 32                         ; attention_fwd.py:35:32
	global_inv scope:SCOPE_SE
	s_cbranch_scc1 .LBB0_327
; %bb.326:
	v_add_nc_u32_e32 v32, 0, v107
	v_xad_u32 v33, v107, 32, 0
	v_xad_u32 v34, v107, 64, 0
	ds_load_b128 v[40:43], v32 offset:8192
	ds_load_b128 v[48:51], v32 offset:10240
	;; [unrolled: 1-line block ×4, first 2 shown]
	v_xad_u32 v32, 0x60, v107, 0
	ds_load_b128 v[84:87], v33 offset:10240
	ds_load_b128 v[88:91], v33 offset:8192
	;; [unrolled: 1-line block ×12, first 2 shown]
	.loc	1 35 23 is_stmt 0               ; attention_fwd.py:35:23
	s_wait_dscnt 0xf
	v_wmma_f32_16x16x16_f16 v[32:39], v[40:43], v[76:79], 0
	s_wait_dscnt 0xe
	v_wmma_f32_16x16x16_f16 v[40:47], v[48:51], v[76:79], 0
	;; [unrolled: 2-line block ×3, first 2 shown]
	v_wmma_f32_16x16x16_f16 v[56:63], v[80:83], v[76:79], 0
	s_wait_dscnt 0xa
	v_wmma_f32_16x16x16_f16 v[32:39], v[88:91], v[72:75], v[32:39]
	v_wmma_f32_16x16x16_f16 v[40:47], v[84:87], v[72:75], v[40:47]
	s_wait_dscnt 0x8
	v_wmma_f32_16x16x16_f16 v[48:55], v[96:99], v[72:75], v[48:55]
	;; [unrolled: 3-line block ×5, first 2 shown]
	v_wmma_f32_16x16x16_f16 v[40:47], v[131:134], v[64:67], v[40:47]
	v_wmma_f32_16x16x16_f16 v[48:55], v[127:130], v[64:67], v[48:55]
	;; [unrolled: 1-line block ×3, first 2 shown]
.LBB0_327:
	.loc	1 31 32 is_stmt 1               ; attention_fwd.py:31:32
	s_wait_alu depctr_sa_sdst(0)
	s_lshl_b32 s0, s0, 6
	.loc	1 35 38                         ; attention_fwd.py:35:38
	s_wait_kmcnt 0x0
	v_dual_mul_f32 v32, s38, v32 :: v_dual_mul_f32 v33, s38, v33
	.loc	1 31 32                         ; attention_fwd.py:31:32
	s_wait_alu depctr_sa_sdst(0)
	s_sub_co_i32 s0, s0, 64
	.loc	1 17 46                         ; attention_fwd.py:17:46
	v_or_b32_e32 v64, 4, v101
	.loc	1 32 27                         ; attention_fwd.py:32:27
	s_wait_alu depctr_sa_sdst(0)
	v_or_b32_e32 v92, s0, v101
	.loc	1 35 38                         ; attention_fwd.py:35:38
	v_dual_mul_f32 v34, s38, v34 :: v_dual_mul_f32 v35, s38, v35
	.loc	1 17 46                         ; attention_fwd.py:17:46
	v_or_b32_e32 v65, 5, v101
	.loc	1 32 27                         ; attention_fwd.py:32:27
	v_or_b32_e32 v96, s0, v64
	s_delay_alu instid0(VALU_DEP_4)
	v_or_b32_e32 v93, 1, v92
	.loc	1 36 40                         ; attention_fwd.py:36:40
	v_cmp_gt_i32_e32 vcc_lo, s34, v92
	.loc	1 32 27                         ; attention_fwd.py:32:27
	v_or_b32_e32 v94, 2, v92
	v_or_b32_e32 v95, 3, v92
	.loc	1 17 46                         ; attention_fwd.py:17:46
	v_or_b32_e32 v66, 6, v101
	.loc	1 32 27                         ; attention_fwd.py:32:27
	;; [unrolled: 2-line block ×3, first 2 shown]
	s_wait_alu depctr_va_vcc(0)
	v_cndmask_b32_e32 v32, 0xff800000, v32, vcc_lo
	.loc	1 36 40 is_stmt 0               ; attention_fwd.py:36:40
	v_cmp_gt_i32_e32 vcc_lo, s34, v93
	.loc	1 35 38 is_stmt 1               ; attention_fwd.py:35:38
	v_dual_mul_f32 v36, s38, v36 :: v_dual_mul_f32 v37, s38, v37
	.loc	1 17 46                         ; attention_fwd.py:17:46
	v_or_b32_e32 v67, 7, v101
	.loc	1 32 27                         ; attention_fwd.py:32:27
	v_or_b32_e32 v98, s0, v66
	.loc	1 36 52                         ; attention_fwd.py:36:52
	s_wait_alu depctr_va_vcc(0)
	v_cndmask_b32_e32 v33, 0xff800000, v33, vcc_lo
	.loc	1 36 40 is_stmt 0               ; attention_fwd.py:36:40
	v_cmp_gt_i32_e32 vcc_lo, s34, v94
	.loc	1 17 46 is_stmt 1               ; attention_fwd.py:17:46
	v_or_b32_e32 v68, 16, v101
	.loc	1 32 27                         ; attention_fwd.py:32:27
	v_or_b32_e32 v99, s0, v67
	.loc	1 35 38                         ; attention_fwd.py:35:38
	v_dual_mul_f32 v38, s38, v38 :: v_dual_mul_f32 v39, s38, v39
	.loc	1 36 52                         ; attention_fwd.py:36:52
	s_wait_alu depctr_va_vcc(0)
	v_cndmask_b32_e32 v34, 0xff800000, v34, vcc_lo
	.loc	1 36 40 is_stmt 0               ; attention_fwd.py:36:40
	v_cmp_gt_i32_e32 vcc_lo, s34, v95
	.loc	1 17 46 is_stmt 1               ; attention_fwd.py:17:46
	v_or_b32_e32 v69, 17, v101
	.loc	1 32 27                         ; attention_fwd.py:32:27
	v_or_b32_e32 v102, s0, v68
	.loc	1 17 46                         ; attention_fwd.py:17:46
	;; [unrolled: 2-line block ×3, first 2 shown]
	v_dual_mul_f32 v40, s38, v40 :: v_dual_mul_f32 v41, s38, v41
	.loc	1 36 52                         ; attention_fwd.py:36:52
	s_wait_alu depctr_va_vcc(0)
	v_dual_cndmask_b32 v35, 0xff800000, v35 :: v_dual_max_num_f32 v92, v32, v33
	.loc	1 36 40 is_stmt 0               ; attention_fwd.py:36:40
	v_cmp_gt_i32_e32 vcc_lo, s34, v96
	.loc	1 32 27 is_stmt 1               ; attention_fwd.py:32:27
	v_or_b32_e32 v103, s0, v69
	.loc	1 17 46                         ; attention_fwd.py:17:46
	v_or_b32_e32 v71, 19, v101
	.loc	1 32 27                         ; attention_fwd.py:32:27
	;; [unrolled: 2-line block ×4, first 2 shown]
	s_wait_alu depctr_va_vcc(0)
	v_cndmask_b32_e32 v36, 0xff800000, v36, vcc_lo
	.loc	1 36 40 is_stmt 0               ; attention_fwd.py:36:40
	v_cmp_gt_i32_e32 vcc_lo, s34, v97
	.loc	1 32 27 is_stmt 1               ; attention_fwd.py:32:27
	v_or_b32_e32 v105, s0, v71
	.loc	1 35 38                         ; attention_fwd.py:35:38
	v_dual_mul_f32 v42, s38, v42 :: v_dual_mul_f32 v43, s38, v43
	.loc	1 17 46                         ; attention_fwd.py:17:46
	v_or_b32_e32 v73, 21, v101
	.loc	1 36 52                         ; attention_fwd.py:36:52
	s_wait_alu depctr_va_vcc(0)
	v_cndmask_b32_e32 v37, 0xff800000, v37, vcc_lo
	.loc	1 36 40 is_stmt 0               ; attention_fwd.py:36:40
	v_cmp_gt_i32_e32 vcc_lo, s34, v98
	.loc	1 32 27 is_stmt 1               ; attention_fwd.py:32:27
	v_or_b32_e32 v107, s0, v72
	.loc	1 17 46                         ; attention_fwd.py:17:46
	v_or_b32_e32 v74, 22, v101
	.loc	1 32 27                         ; attention_fwd.py:32:27
	;; [unrolled: 2-line block ×3, first 2 shown]
	v_dual_mul_f32 v44, s38, v44 :: v_dual_mul_f32 v45, s38, v45
	.loc	1 36 52                         ; attention_fwd.py:36:52
	s_wait_alu depctr_va_vcc(0)
	v_cndmask_b32_e32 v38, 0xff800000, v38, vcc_lo
	.loc	1 36 40 is_stmt 0               ; attention_fwd.py:36:40
	v_cmp_gt_i32_e32 vcc_lo, s34, v99
	.loc	1 17 46 is_stmt 1               ; attention_fwd.py:17:46
	v_or_b32_e32 v75, 23, v101
	.loc	1 32 27                         ; attention_fwd.py:32:27
	v_or_b32_e32 v110, s0, v74
	.loc	1 17 46                         ; attention_fwd.py:17:46
	;; [unrolled: 2-line block ×3, first 2 shown]
	v_dual_mul_f32 v46, s38, v46 :: v_dual_mul_f32 v47, s38, v47
	.loc	1 36 52                         ; attention_fwd.py:36:52
	s_wait_alu depctr_va_vcc(0)
	v_cndmask_b32_e32 v93, 0xff800000, v39, vcc_lo
	.loc	1 36 40 is_stmt 0               ; attention_fwd.py:36:40
	v_cmp_gt_i32_e32 vcc_lo, s34, v102
	.loc	1 32 27 is_stmt 1               ; attention_fwd.py:32:27
	v_or_b32_e32 v111, s0, v75
	.loc	1 17 46                         ; attention_fwd.py:17:46
	v_or_b32_e32 v77, 33, v101
	.loc	1 32 27                         ; attention_fwd.py:32:27
	;; [unrolled: 2-line block ×4, first 2 shown]
	s_wait_alu depctr_va_vcc(0)
	v_cndmask_b32_e32 v40, 0xff800000, v40, vcc_lo
	.loc	1 36 40 is_stmt 0               ; attention_fwd.py:36:40
	v_cmp_gt_i32_e32 vcc_lo, s34, v103
	.loc	1 32 27 is_stmt 1               ; attention_fwd.py:32:27
	v_or_b32_e32 v113, s0, v77
	.loc	1 35 38                         ; attention_fwd.py:35:38
	v_dual_mul_f32 v48, s38, v48 :: v_dual_mul_f32 v49, s38, v49
	.loc	1 17 46                         ; attention_fwd.py:17:46
	v_or_b32_e32 v79, 35, v101
	.loc	1 36 52                         ; attention_fwd.py:36:52
	s_wait_alu depctr_va_vcc(0)
	v_cndmask_b32_e32 v41, 0xff800000, v41, vcc_lo
	.loc	1 36 40 is_stmt 0               ; attention_fwd.py:36:40
	v_cmp_gt_i32_e32 vcc_lo, s34, v104
	.loc	1 32 27 is_stmt 1               ; attention_fwd.py:32:27
	v_or_b32_e32 v114, s0, v78
	.loc	1 17 46                         ; attention_fwd.py:17:46
	v_or_b32_e32 v80, 36, v101
	.loc	1 32 27                         ; attention_fwd.py:32:27
	;; [unrolled: 2-line block ×3, first 2 shown]
	v_dual_mul_f32 v50, s38, v50 :: v_dual_mul_f32 v51, s38, v51
	.loc	1 36 52                         ; attention_fwd.py:36:52
	s_wait_alu depctr_va_vcc(0)
	v_cndmask_b32_e32 v42, 0xff800000, v42, vcc_lo
	.loc	1 36 40 is_stmt 0               ; attention_fwd.py:36:40
	v_cmp_gt_i32_e32 vcc_lo, s34, v105
	.loc	1 17 46 is_stmt 1               ; attention_fwd.py:17:46
	v_or_b32_e32 v81, 37, v101
	.loc	1 32 27                         ; attention_fwd.py:32:27
	v_or_b32_e32 v116, s0, v80
.Ltmp33:
	.loc	2 170 27                        ; standard.py:170:27 @[ standard.py:191:40 @[ attention_fwd.py:39:42 ] ]
	v_max3_num_f32 v92, v92, v34, v35
.Ltmp34:
	.loc	1 17 46                         ; attention_fwd.py:17:46
	v_or_b32_e32 v82, 38, v101
	.loc	1 36 52                         ; attention_fwd.py:36:52
	s_wait_alu depctr_va_vcc(0)
	v_cndmask_b32_e32 v43, 0xff800000, v43, vcc_lo
	.loc	1 36 40 is_stmt 0               ; attention_fwd.py:36:40
	v_cmp_gt_i32_e32 vcc_lo, s34, v107
	.loc	1 32 27 is_stmt 1               ; attention_fwd.py:32:27
	v_or_b32_e32 v117, s0, v81
	.loc	1 35 38                         ; attention_fwd.py:35:38
	v_dual_mul_f32 v52, s38, v52 :: v_dual_mul_f32 v53, s38, v53
.Ltmp35:
	.loc	2 170 27                        ; standard.py:170:27 @[ standard.py:191:40 @[ attention_fwd.py:39:42 ] ]
	v_max3_num_f32 v39, v92, v36, v37
.Ltmp36:
	.loc	1 36 52                         ; attention_fwd.py:36:52
	s_wait_alu depctr_va_vcc(0)
	v_cndmask_b32_e32 v44, 0xff800000, v44, vcc_lo
	.loc	1 36 40 is_stmt 0               ; attention_fwd.py:36:40
	v_cmp_gt_i32_e32 vcc_lo, s34, v108
	.loc	1 17 46 is_stmt 1               ; attention_fwd.py:17:46
	v_or_b32_e32 v83, 39, v101
	.loc	1 32 27                         ; attention_fwd.py:32:27
	v_or_b32_e32 v119, s0, v82
.Ltmp37:
	.loc	2 170 27                        ; standard.py:170:27 @[ standard.py:191:40 @[ attention_fwd.py:39:42 ] ]
	v_max3_num_f32 v39, v39, v38, v93
.Ltmp38:
	.loc	1 17 46                         ; attention_fwd.py:17:46
	v_or_b32_e32 v84, 48, v101
	.loc	1 36 52                         ; attention_fwd.py:36:52
	s_wait_alu depctr_va_vcc(0)
	v_cndmask_b32_e32 v45, 0xff800000, v45, vcc_lo
	.loc	1 36 40 is_stmt 0               ; attention_fwd.py:36:40
	v_cmp_gt_i32_e32 vcc_lo, s34, v110
	.loc	1 32 27 is_stmt 1               ; attention_fwd.py:32:27
	v_or_b32_e32 v120, s0, v83
	.loc	1 35 38                         ; attention_fwd.py:35:38
	v_dual_mul_f32 v54, s38, v54 :: v_dual_mul_f32 v55, s38, v55
.Ltmp39:
	.loc	2 170 27                        ; standard.py:170:27 @[ standard.py:191:40 @[ attention_fwd.py:39:42 ] ]
	v_max3_num_f32 v39, v39, v40, v41
.Ltmp40:
	.loc	1 36 52                         ; attention_fwd.py:36:52
	s_wait_alu depctr_va_vcc(0)
	v_cndmask_b32_e32 v46, 0xff800000, v46, vcc_lo
	.loc	1 36 40 is_stmt 0               ; attention_fwd.py:36:40
	v_cmp_gt_i32_e32 vcc_lo, s34, v111
	.loc	1 17 46 is_stmt 1               ; attention_fwd.py:17:46
	v_or_b32_e32 v85, 49, v101
	.loc	1 32 27                         ; attention_fwd.py:32:27
	v_or_b32_e32 v121, s0, v84
.Ltmp41:
	.loc	2 170 27                        ; standard.py:170:27 @[ standard.py:191:40 @[ attention_fwd.py:39:42 ] ]
	v_max3_num_f32 v39, v39, v42, v43
.Ltmp42:
	.loc	1 17 46                         ; attention_fwd.py:17:46
	v_or_b32_e32 v86, 50, v101
	.loc	1 36 52                         ; attention_fwd.py:36:52
	s_wait_alu depctr_va_vcc(0)
	v_cndmask_b32_e32 v47, 0xff800000, v47, vcc_lo
	.loc	1 36 40 is_stmt 0               ; attention_fwd.py:36:40
	v_cmp_gt_i32_e32 vcc_lo, s34, v112
	.loc	1 32 27 is_stmt 1               ; attention_fwd.py:32:27
	v_or_b32_e32 v122, s0, v85
	.loc	1 35 38                         ; attention_fwd.py:35:38
	v_dual_mul_f32 v56, s38, v56 :: v_dual_mul_f32 v57, s38, v57
.Ltmp43:
	.loc	2 170 27                        ; standard.py:170:27 @[ standard.py:191:40 @[ attention_fwd.py:39:42 ] ]
	v_max3_num_f32 v39, v39, v44, v45
.Ltmp44:
	.loc	1 36 52                         ; attention_fwd.py:36:52
	s_wait_alu depctr_va_vcc(0)
	v_cndmask_b32_e32 v48, 0xff800000, v48, vcc_lo
	.loc	1 36 40 is_stmt 0               ; attention_fwd.py:36:40
	v_cmp_gt_i32_e32 vcc_lo, s34, v113
	.loc	1 17 46 is_stmt 1               ; attention_fwd.py:17:46
	v_or_b32_e32 v87, 51, v101
	.loc	1 32 27                         ; attention_fwd.py:32:27
	v_or_b32_e32 v123, s0, v86
.Ltmp45:
	.loc	2 170 27                        ; standard.py:170:27 @[ standard.py:191:40 @[ attention_fwd.py:39:42 ] ]
	v_max3_num_f32 v39, v39, v46, v47
.Ltmp46:
	.loc	1 17 46                         ; attention_fwd.py:17:46
	v_or_b32_e32 v88, 52, v101
	.loc	1 36 52                         ; attention_fwd.py:36:52
	s_wait_alu depctr_va_vcc(0)
	v_cndmask_b32_e32 v49, 0xff800000, v49, vcc_lo
	.loc	1 36 40 is_stmt 0               ; attention_fwd.py:36:40
	v_cmp_gt_i32_e32 vcc_lo, s34, v114
	.loc	1 32 27 is_stmt 1               ; attention_fwd.py:32:27
	v_or_b32_e32 v124, s0, v87
	.loc	1 35 38                         ; attention_fwd.py:35:38
	v_dual_mul_f32 v58, s38, v58 :: v_dual_mul_f32 v59, s38, v59
	s_delay_alu instid0(VALU_DEP_4)
.Ltmp47:
	.loc	2 170 27                        ; standard.py:170:27 @[ standard.py:191:40 @[ attention_fwd.py:39:42 ] ]
	v_max3_num_f32 v39, v39, v48, v49
.Ltmp48:
	.loc	1 36 52                         ; attention_fwd.py:36:52
	s_wait_alu depctr_va_vcc(0)
	v_cndmask_b32_e32 v50, 0xff800000, v50, vcc_lo
	.loc	1 36 40 is_stmt 0               ; attention_fwd.py:36:40
	v_cmp_gt_i32_e32 vcc_lo, s34, v115
	.loc	1 17 46 is_stmt 1               ; attention_fwd.py:17:46
	v_or_b32_e32 v89, 53, v101
	.loc	1 32 27                         ; attention_fwd.py:32:27
	v_or_b32_e32 v125, s0, v88
	.loc	1 17 46                         ; attention_fwd.py:17:46
	;; [unrolled: 2-line block ×3, first 2 shown]
	v_dual_mul_f32 v60, s38, v60 :: v_dual_mul_f32 v61, s38, v61
	.loc	1 36 52                         ; attention_fwd.py:36:52
	s_wait_alu depctr_va_vcc(0)
	v_cndmask_b32_e32 v51, 0xff800000, v51, vcc_lo
	.loc	1 36 40 is_stmt 0               ; attention_fwd.py:36:40
	v_cmp_gt_i32_e32 vcc_lo, s34, v116
	.loc	1 32 27 is_stmt 1               ; attention_fwd.py:32:27
	v_or_b32_e32 v126, s0, v89
	.loc	1 17 46                         ; attention_fwd.py:17:46
	v_or_b32_e32 v91, 55, v101
	.loc	1 32 27                         ; attention_fwd.py:32:27
	v_or_b32_e32 v127, s0, v90
.Ltmp49:
	.loc	2 170 27                        ; standard.py:170:27 @[ standard.py:191:40 @[ attention_fwd.py:39:42 ] ]
	v_max3_num_f32 v39, v39, v50, v51
.Ltmp50:
	.loc	1 36 52                         ; attention_fwd.py:36:52
	s_wait_alu depctr_va_vcc(0)
	v_cndmask_b32_e32 v52, 0xff800000, v52, vcc_lo
	.loc	1 36 40 is_stmt 0               ; attention_fwd.py:36:40
	v_cmp_gt_i32_e32 vcc_lo, s34, v117
	.loc	1 32 27 is_stmt 1               ; attention_fwd.py:32:27
	v_or_b32_e32 v128, s0, v91
	.loc	1 35 38                         ; attention_fwd.py:35:38
	v_dual_mul_f32 v62, s38, v62 :: v_dual_mul_f32 v63, s38, v63
	s_mov_b32 s6, 0x76543210
	.loc	1 36 52                         ; attention_fwd.py:36:52
	s_wait_alu depctr_va_vcc(0)
	v_cndmask_b32_e32 v53, 0xff800000, v53, vcc_lo
	.loc	1 36 40 is_stmt 0               ; attention_fwd.py:36:40
	v_cmp_gt_i32_e32 vcc_lo, s34, v119
	s_delay_alu instid0(VALU_DEP_2)
.Ltmp51:
	.loc	2 170 27 is_stmt 1              ; standard.py:170:27 @[ standard.py:191:40 @[ attention_fwd.py:39:42 ] ]
	v_max3_num_f32 v39, v39, v52, v53
.Ltmp52:
	.loc	1 36 52                         ; attention_fwd.py:36:52
	s_wait_alu depctr_va_vcc(0)
	v_cndmask_b32_e32 v54, 0xff800000, v54, vcc_lo
	.loc	1 36 40 is_stmt 0               ; attention_fwd.py:36:40
	v_cmp_gt_i32_e32 vcc_lo, s34, v120
	.loc	1 36 52                         ; attention_fwd.py:36:52
	s_wait_alu depctr_va_vcc(0)
	v_cndmask_b32_e32 v55, 0xff800000, v55, vcc_lo
	.loc	1 36 40                         ; attention_fwd.py:36:40
	v_cmp_gt_i32_e32 vcc_lo, s34, v121
	s_delay_alu instid0(VALU_DEP_2)
.Ltmp53:
	.loc	2 170 27 is_stmt 1              ; standard.py:170:27 @[ standard.py:191:40 @[ attention_fwd.py:39:42 ] ]
	v_max3_num_f32 v39, v39, v54, v55
.Ltmp54:
	.loc	1 36 52                         ; attention_fwd.py:36:52
	s_wait_alu depctr_va_vcc(0)
	v_cndmask_b32_e32 v56, 0xff800000, v56, vcc_lo
	.loc	1 36 40 is_stmt 0               ; attention_fwd.py:36:40
	v_cmp_gt_i32_e32 vcc_lo, s34, v122
	.loc	1 36 52                         ; attention_fwd.py:36:52
	s_wait_alu depctr_va_vcc(0)
	v_cndmask_b32_e32 v57, 0xff800000, v57, vcc_lo
	.loc	1 36 40                         ; attention_fwd.py:36:40
	v_cmp_gt_i32_e32 vcc_lo, s34, v123
	s_delay_alu instid0(VALU_DEP_2)
.Ltmp55:
	.loc	2 170 27 is_stmt 1              ; standard.py:170:27 @[ standard.py:191:40 @[ attention_fwd.py:39:42 ] ]
	v_max3_num_f32 v39, v39, v56, v57
.Ltmp56:
	.loc	1 36 52                         ; attention_fwd.py:36:52
	s_wait_alu depctr_va_vcc(0)
	v_cndmask_b32_e32 v58, 0xff800000, v58, vcc_lo
	.loc	1 36 40 is_stmt 0               ; attention_fwd.py:36:40
	v_cmp_gt_i32_e32 vcc_lo, s34, v124
	.loc	1 36 52                         ; attention_fwd.py:36:52
	s_wait_alu depctr_va_vcc(0)
	v_cndmask_b32_e32 v59, 0xff800000, v59, vcc_lo
	.loc	1 36 40                         ; attention_fwd.py:36:40
	v_cmp_gt_i32_e32 vcc_lo, s34, v125
	s_delay_alu instid0(VALU_DEP_2)
.Ltmp57:
	.loc	2 170 27 is_stmt 1              ; standard.py:170:27 @[ standard.py:191:40 @[ attention_fwd.py:39:42 ] ]
	v_max3_num_f32 v39, v39, v58, v59
.Ltmp58:
	.loc	1 36 52                         ; attention_fwd.py:36:52
	s_wait_alu depctr_va_vcc(0)
	v_cndmask_b32_e32 v60, 0xff800000, v60, vcc_lo
	.loc	1 36 40 is_stmt 0               ; attention_fwd.py:36:40
	v_cmp_gt_i32_e32 vcc_lo, s34, v126
	.loc	1 36 52                         ; attention_fwd.py:36:52
	s_wait_alu depctr_va_vcc(0)
	v_cndmask_b32_e32 v61, 0xff800000, v61, vcc_lo
	.loc	1 36 40                         ; attention_fwd.py:36:40
	v_cmp_gt_i32_e32 vcc_lo, s34, v127
	s_delay_alu instid0(VALU_DEP_2)
.Ltmp59:
	.loc	2 170 27 is_stmt 1              ; standard.py:170:27 @[ standard.py:191:40 @[ attention_fwd.py:39:42 ] ]
	v_max3_num_f32 v39, v39, v60, v61
.Ltmp60:
	.loc	1 36 52                         ; attention_fwd.py:36:52
	s_wait_alu depctr_va_vcc(0)
	v_cndmask_b32_e32 v62, 0xff800000, v62, vcc_lo
	.loc	1 36 40 is_stmt 0               ; attention_fwd.py:36:40
	v_cmp_gt_i32_e32 vcc_lo, s34, v128
	.loc	1 36 52                         ; attention_fwd.py:36:52
	s_wait_alu depctr_va_vcc(0)
	v_cndmask_b32_e32 v63, 0xff800000, v63, vcc_lo
	s_delay_alu instid0(VALU_DEP_1) | instskip(SKIP_1) | instid1(VALU_DEP_1)
.Ltmp61:
	.loc	2 170 27 is_stmt 1              ; standard.py:170:27 @[ standard.py:191:40 @[ attention_fwd.py:39:42 ] ]
	v_max3_num_f32 v39, v39, v62, v63
.Ltmp62:
	.loc	2 191 40                        ; standard.py:191:40 @[ attention_fwd.py:39:42 ]
	s_wait_alu depctr_sa_sdst(0)
	v_permlanex16_b32 v92, v39, s6, 0xfedcba98 op_sel:[1,0]
	s_delay_alu instid0(VALU_DEP_1) | instskip(NEXT) | instid1(VALU_DEP_1)
.Ltmp63:
	.loc	1 39 31                         ; attention_fwd.py:39:31
	v_max3_num_f32 v39, v118, v39, v92
	.loc	1 40 24                         ; attention_fwd.py:40:24
	v_sub_f32_e32 v33, v33, v39
	v_sub_f32_e32 v32, v32, v39
	;; [unrolled: 1-line block ×6, first 2 shown]
	v_dual_sub_f32 v46, v46, v39 :: v_dual_mul_f32 v43, 0x3fb8aa3b, v32
	v_sub_f32_e32 v35, v35, v39
	v_sub_f32_e32 v34, v34, v39
	;; [unrolled: 1-line block ×4, first 2 shown]
	.loc	1 40 19 is_stmt 0               ; attention_fwd.py:40:19
	v_cmp_gt_f32_e32 vcc_lo, 0xc2fc0000, v43
	.loc	1 40 24                         ; attention_fwd.py:40:24
	v_sub_f32_e32 v40, v40, v39
	v_sub_f32_e32 v41, v41, v39
	;; [unrolled: 1-line block ×3, first 2 shown]
	v_dual_sub_f32 v50, v50, v39 :: v_dual_mul_f32 v53, 0x3fb8aa3b, v36
	.loc	1 40 19                         ; attention_fwd.py:40:19
	s_wait_alu depctr_va_vcc(0)
	v_cndmask_b32_e64 v43, 0, 0x42800000, vcc_lo
	.loc	1 40 24                         ; attention_fwd.py:40:24
	v_sub_f32_e32 v96, v49, v39
	.loc	1 40 19                         ; attention_fwd.py:40:19
	v_mul_f32_e32 v48, 0x3fb8aa3b, v35
	.loc	1 40 24                         ; attention_fwd.py:40:24
	v_sub_f32_e32 v47, v47, v39
	s_delay_alu instid0(VALU_DEP_4)
	v_dual_sub_f32 v94, v44, v39 :: v_dual_fmac_f32 v43, 0x3fb8aa3b, v32
	.loc	1 40 19                         ; attention_fwd.py:40:19
	v_mul_f32_e32 v32, 0x3fb8aa3b, v33
	v_cndmask_b32_e64 v49, 0, 0xffffffc0, vcc_lo
	v_cmp_gt_f32_e64 s1, 0xc2fc0000, v48
	v_cmp_gt_f32_e64 s2, 0xc2fc0000, v53
	v_exp_f32_e32 v43, v43
	v_cmp_gt_f32_e64 s0, 0xc2fc0000, v32
	v_dual_mul_f32 v32, 0x3fb8aa3b, v34 :: v_dual_mul_f32 v53, 0x3fb8aa3b, v41
	.loc	1 40 24                         ; attention_fwd.py:40:24
	v_sub_f32_e32 v38, v38, v39
	v_sub_f32_e32 v45, v45, v39
	.loc	1 40 19                         ; attention_fwd.py:40:19
	s_wait_alu depctr_va_sdst(0)
	v_cndmask_b32_e64 v44, 0, 0x42800000, s0
	v_cmp_gt_f32_e32 vcc_lo, 0xc2fc0000, v32
	.loc	1 40 24                         ; attention_fwd.py:40:24
	v_sub_f32_e32 v42, v42, v39
	.loc	1 40 19                         ; attention_fwd.py:40:19
	v_cndmask_b32_e64 v48, 0, 0x42800000, s1
	s_delay_alu instid0(VALU_DEP_4)
	.loc	1 40 24                         ; attention_fwd.py:40:24
	v_dual_sub_f32 v99, v55, v39 :: v_dual_fmac_f32 v44, 0x3fb8aa3b, v33
	.loc	1 40 19                         ; attention_fwd.py:40:19
	s_wait_alu depctr_va_vcc(0)
	v_cndmask_b32_e64 v33, 0, 0x42800000, vcc_lo
	.loc	1 40 24                         ; attention_fwd.py:40:24
	v_sub_f32_e32 v52, v52, v39
	v_sub_f32_e32 v103, v57, v39
	;; [unrolled: 1-line block ×3, first 2 shown]
	.loc	1 40 19                         ; attention_fwd.py:40:19
	v_ldexp_f32 v32, v43, v49
	v_exp_f32_e32 v43, v44
	v_dual_fmac_f32 v33, 0x3fb8aa3b, v34 :: v_dual_fmac_f32 v48, 0x3fb8aa3b, v35
	v_cndmask_b32_e64 v34, 0, 0x42800000, s2
	v_mul_f32_e32 v35, 0x3fb8aa3b, v37
	v_cndmask_b32_e64 v44, 0, 0xffffffc0, s0
	s_delay_alu instid0(VALU_DEP_4) | instskip(SKIP_3) | instid1(TRANS32_DEP_3)
	v_exp_f32_e32 v49, v33
	v_exp_f32_e32 v48, v48
	v_dual_fmac_f32 v34, 0x3fb8aa3b, v36 :: v_dual_mul_f32 v55, 0x3fb8aa3b, v46
	v_cmp_gt_f32_e64 s0, 0xc2fc0000, v35
	v_ldexp_f32 v33, v43, v44
	v_cndmask_b32_e64 v35, 0, 0xffffffc0, vcc_lo
	v_cndmask_b32_e64 v43, 0, 0xffffffc0, s1
	v_exp_f32_e32 v44, v34
	s_wait_alu depctr_va_sdst(0)
	v_cndmask_b32_e64 v36, 0, 0x42800000, s0
	.loc	1 40 24                         ; attention_fwd.py:40:24
	v_sub_f32_e32 v105, v59, v39
	v_sub_f32_e32 v102, v56, v39
	.loc	1 40 19                         ; attention_fwd.py:40:19
	v_ldexp_f32 v34, v49, v35
	v_ldexp_f32 v35, v48, v43
	v_dual_fmac_f32 v36, 0x3fb8aa3b, v37 :: v_dual_mul_f32 v37, 0x3fb8aa3b, v38
	v_cndmask_b32_e64 v43, 0, 0xffffffc0, s2
	.loc	1 40 24                         ; attention_fwd.py:40:24
	v_sub_f32_e32 v111, v63, v39
	v_sub_f32_e32 v107, v60, v39
	s_delay_alu instid0(VALU_DEP_4)
	.loc	1 40 19                         ; attention_fwd.py:40:19
	v_exp_f32_e32 v48, v36
	v_cmp_gt_f32_e32 vcc_lo, 0xc2fc0000, v37
	v_ldexp_f32 v36, v44, v43
	v_dual_mul_f32 v43, 0x3fb8aa3b, v40 :: v_dual_sub_f32 v104, v58, v39
	v_mul_f32_e32 v37, 0x3fb8aa3b, v92
	s_wait_alu depctr_va_vcc(0)
	v_cndmask_b32_e64 v49, 0, 0x42800000, vcc_lo
	.loc	1 40 24                         ; attention_fwd.py:40:24
	v_sub_f32_e32 v108, v61, v39
	.loc	1 40 19                         ; attention_fwd.py:40:19
	v_cmp_gt_f32_e64 s1, 0xc2fc0000, v43
	v_cndmask_b32_e64 v44, 0, 0xffffffc0, s0
	v_cmp_gt_f32_e64 s0, 0xc2fc0000, v37
	v_fmac_f32_e32 v49, 0x3fb8aa3b, v38
	v_cmp_gt_f32_e64 s2, 0xc2fc0000, v53
	s_wait_alu depctr_va_sdst(0)
	v_cndmask_b32_e64 v43, 0, 0x42800000, s1
	v_ldexp_f32 v37, v48, v44
	v_cndmask_b32_e64 v38, 0, 0x42800000, s0
	v_exp_f32_e32 v44, v49
	s_delay_alu instid0(VALU_DEP_3) | instskip(SKIP_1) | instid1(VALU_DEP_3)
	v_dual_mul_f32 v48, 0x3fb8aa3b, v42 :: v_dual_fmac_f32 v43, 0x3fb8aa3b, v40
	v_cndmask_b32_e64 v40, 0, 0x42800000, s2
	v_fmac_f32_e32 v38, 0x3fb8aa3b, v92
	v_cndmask_b32_e64 v49, 0, 0xffffffc0, vcc_lo
	s_delay_alu instid0(VALU_DEP_4)
	v_cmp_gt_f32_e32 vcc_lo, 0xc2fc0000, v48
	v_exp_f32_e32 v43, v43
	v_dual_fmac_f32 v40, 0x3fb8aa3b, v41 :: v_dual_mul_f32 v57, 0x3fb8aa3b, v50
	v_exp_f32_e32 v53, v38
	s_wait_alu depctr_va_vcc(0)
	v_cndmask_b32_e64 v41, 0, 0x42800000, vcc_lo
	v_ldexp_f32 v38, v44, v49
	v_cndmask_b32_e64 v48, 0, 0xffffffc0, s1
	v_exp_f32_e32 v49, v40
	v_cndmask_b32_e64 v44, 0, 0xffffffc0, s0
	v_dual_fmac_f32 v41, 0x3fb8aa3b, v42 :: v_dual_mul_f32 v54, 0x3fb8aa3b, v93
	s_delay_alu instid0(VALU_DEP_3) | instskip(SKIP_1) | instid1(VALU_DEP_4)
	v_ldexp_f32 v42, v43, v48
	v_cndmask_b32_e64 v43, 0, 0xffffffc0, s2
	v_ldexp_f32 v40, v53, v44
	v_mul_f32_e32 v44, 0x3fb8aa3b, v94
	v_cmp_gt_f32_e64 s0, 0xc2fc0000, v54
	v_exp_f32_e32 v41, v41
	s_delay_alu instid0(TRANS32_DEP_2)
	v_ldexp_f32 v43, v49, v43
	v_mul_f32_e32 v49, 0x3fb8aa3b, v45
	v_cndmask_b32_e64 v53, 0, 0xffffffc0, vcc_lo
	s_wait_alu depctr_va_sdst(0)
	v_cndmask_b32_e64 v48, 0, 0x42800000, s0
	v_cmp_gt_f32_e32 vcc_lo, 0xc2fc0000, v44
	v_cmp_gt_f32_e64 s2, 0xc2fc0000, v55
	v_cmp_gt_f32_e64 s1, 0xc2fc0000, v49
	v_mul_f32_e32 v58, 0x3fb8aa3b, v97
	v_fmac_f32_e32 v48, 0x3fb8aa3b, v93
	s_wait_alu depctr_va_vcc(0)
	v_cndmask_b32_e64 v54, 0, 0x42800000, vcc_lo
	v_ldexp_f32 v44, v41, v53
	s_wait_alu depctr_va_sdst(0)
	v_cndmask_b32_e64 v49, 0, 0x42800000, s1
	v_cndmask_b32_e64 v53, 0, 0xffffffc0, s0
	v_exp_f32_e32 v41, v48
	v_fmac_f32_e32 v54, 0x3fb8aa3b, v94
	v_cndmask_b32_e64 v48, 0, 0x42800000, s2
	v_fmac_f32_e32 v49, 0x3fb8aa3b, v45
	v_mul_f32_e32 v45, 0x3fb8aa3b, v47
	v_mul_f32_e32 v61, 0x3fb8aa3b, v103
	v_exp_f32_e32 v54, v54
	v_fmac_f32_e32 v48, 0x3fb8aa3b, v46
	v_exp_f32_e32 v49, v49
	v_cmp_gt_f32_e64 s0, 0xc2fc0000, v45
	v_ldexp_f32 v45, v41, v53
	v_cndmask_b32_e64 v41, 0, 0xffffffc0, vcc_lo
	v_exp_f32_e32 v55, v48
	v_cndmask_b32_e64 v53, 0, 0xffffffc0, s1
	s_wait_alu depctr_va_sdst(0)
	v_cndmask_b32_e64 v46, 0, 0x42800000, s0
	v_cmp_gt_f32_e64 s1, 0xc2fc0000, v57
	v_mul_f32_e32 v60, 0x3fb8aa3b, v102
	v_mul_f32_e32 v92, 0x3fb8aa3b, v107
	v_ldexp_f32 v48, v49, v53
	v_fmac_f32_e32 v46, 0x3fb8aa3b, v47
	v_ldexp_f32 v47, v54, v41
	v_cndmask_b32_e64 v41, 0, 0xffffffc0, s2
	v_mul_f32_e32 v53, 0x3fb8aa3b, v96
	v_mul_f32_e32 v93, 0x3fb8aa3b, v108
	s_delay_alu instid0(VALU_DEP_3) | instskip(SKIP_3) | instid1(VALU_DEP_3)
	v_ldexp_f32 v49, v55, v41
.Ltmp64:
	.loc	2 263 15 is_stmt 1              ; standard.py:263:15 @[ standard.py:293:36 @[ attention_fwd.py:42:38 ] ]
	v_dual_add_f32 v41, v32, v33 :: v_dual_sub_f32 v110, v62, v39
.Ltmp65:
	.loc	1 40 19                         ; attention_fwd.py:40:19
	v_cndmask_b32_e64 v55, 0, 0xffffffc0, s0
	v_cmp_gt_f32_e64 s0, 0xc2fc0000, v53
	v_dual_mul_f32 v62, 0x3fb8aa3b, v104 :: v_dual_add_f32 v41, v34, v41
	s_delay_alu instid0(VALU_DEP_1) | instskip(NEXT) | instid1(VALU_DEP_1)
	v_dual_mul_f32 v94, 0x3fb8aa3b, v110 :: v_dual_add_f32 v41, v35, v41
.Ltmp66:
	.loc	2 263 15                        ; standard.py:263:15 @[ standard.py:293:36 @[ attention_fwd.py:42:38 ] ]
	v_add_f32_e32 v41, v36, v41
	s_delay_alu instid0(VALU_DEP_1) | instskip(NEXT) | instid1(VALU_DEP_1)
	v_add_f32_e32 v41, v37, v41
	v_dual_add_f32 v41, v38, v41 :: v_dual_mul_f32 v56, 0x3fb8aa3b, v95
.Ltmp67:
	.loc	1 40 19                         ; attention_fwd.py:40:19
	v_exp_f32_e32 v46, v46
	s_delay_alu instid0(VALU_DEP_1) | instskip(NEXT) | instid1(VALU_DEP_2)
.Ltmp68:
	.loc	2 263 15                        ; standard.py:263:15 @[ standard.py:293:36 @[ attention_fwd.py:42:38 ] ]
	v_add_f32_e32 v41, v40, v41
.Ltmp69:
	.loc	1 40 19                         ; attention_fwd.py:40:19
	v_cmp_gt_f32_e32 vcc_lo, 0xc2fc0000, v56
	s_wait_alu depctr_va_sdst(0)
	v_cndmask_b32_e64 v56, 0, 0x42800000, s0
	s_delay_alu instid0(VALU_DEP_3) | instskip(SKIP_2) | instid1(TRANS32_DEP_1)
.Ltmp70:
	.loc	2 263 15                        ; standard.py:263:15 @[ standard.py:293:36 @[ attention_fwd.py:42:38 ] ]
	v_add_f32_e32 v41, v42, v41
.Ltmp71:
	.loc	1 40 19                         ; attention_fwd.py:40:19
	s_wait_alu depctr_va_vcc(0)
	v_cndmask_b32_e64 v54, 0, 0x42800000, vcc_lo
	v_ldexp_f32 v53, v46, v55
	v_cndmask_b32_e64 v55, 0, 0x42800000, s1
	v_cndmask_b32_e64 v57, 0, 0xffffffc0, vcc_lo
	v_dual_fmac_f32 v56, 0x3fb8aa3b, v96 :: v_dual_add_f32 v41, v43, v41
	s_delay_alu instid0(VALU_DEP_3) | instskip(NEXT) | instid1(VALU_DEP_2)
	v_dual_fmac_f32 v54, 0x3fb8aa3b, v95 :: v_dual_fmac_f32 v55, 0x3fb8aa3b, v50
	v_exp_f32_e32 v56, v56
	s_delay_alu instid0(VALU_DEP_2) | instskip(NEXT) | instid1(VALU_DEP_2)
.Ltmp72:
	.loc	2 263 15                        ; standard.py:263:15 @[ standard.py:293:36 @[ attention_fwd.py:42:38 ] ]
	v_add_f32_e32 v41, v44, v41
.Ltmp73:
	.loc	1 40 19                         ; attention_fwd.py:40:19
	v_exp_f32_e32 v46, v54
	s_delay_alu instid0(VALU_DEP_1) | instskip(NEXT) | instid1(VALU_DEP_1)
	v_dual_mul_f32 v54, 0x3fb8aa3b, v51 :: v_dual_add_f32 v41, v45, v41
	v_cmp_gt_f32_e32 vcc_lo, 0xc2fc0000, v54
	s_delay_alu instid0(VALU_DEP_2) | instskip(NEXT) | instid1(TRANS32_DEP_1)
.Ltmp74:
	.loc	2 263 15                        ; standard.py:263:15 @[ standard.py:293:36 @[ attention_fwd.py:42:38 ] ]
	v_add_f32_e32 v41, v47, v41
.Ltmp75:
	.loc	1 40 19                         ; attention_fwd.py:40:19
	v_ldexp_f32 v54, v46, v57
	s_wait_alu depctr_va_vcc(0)
	v_cndmask_b32_e64 v50, 0, 0x42800000, vcc_lo
	v_cndmask_b32_e64 v46, 0, 0xffffffc0, s0
	v_exp_f32_e32 v57, v55
	s_delay_alu instid0(VALU_DEP_2) | instskip(SKIP_1) | instid1(VALU_DEP_3)
.Ltmp76:
	.loc	2 263 15                        ; standard.py:263:15 @[ standard.py:293:36 @[ attention_fwd.py:42:38 ] ]
	v_dual_add_f32 v41, v48, v41 :: v_dual_fmac_f32 v50, 0x3fb8aa3b, v51
.Ltmp77:
	.loc	1 40 19                         ; attention_fwd.py:40:19
	v_mul_f32_e32 v51, 0x3fb8aa3b, v52
	v_ldexp_f32 v55, v56, v46
	v_cndmask_b32_e64 v46, 0, 0xffffffc0, s1
	s_delay_alu instid0(VALU_DEP_4) | instskip(NEXT) | instid1(VALU_DEP_3)
	v_exp_f32_e32 v50, v50
	v_cmp_gt_f32_e64 s0, 0xc2fc0000, v51
	s_delay_alu instid0(TRANS32_DEP_2) | instid1(VALU_DEP_2)
	v_ldexp_f32 v56, v57, v46
	v_cndmask_b32_e64 v46, 0, 0xffffffc0, vcc_lo
	s_wait_alu depctr_va_sdst(0)
	s_delay_alu instid0(VALU_DEP_3)
	v_cndmask_b32_e64 v51, 0, 0x42800000, s0
	s_delay_alu instid0(TRANS32_DEP_1) | instid1(VALU_DEP_2)
	v_ldexp_f32 v57, v50, v46
	s_delay_alu instid0(VALU_DEP_2) | instskip(NEXT) | instid1(VALU_DEP_1)
	v_fmac_f32_e32 v51, 0x3fb8aa3b, v52
	v_exp_f32_e32 v46, v51
	v_mul_f32_e32 v51, 0x3fb8aa3b, v99
	v_cmp_gt_f32_e32 vcc_lo, 0xc2fc0000, v58
	v_mul_f32_e32 v58, 0x3fb8aa3b, v98
	s_wait_alu depctr_va_vcc(0)
	v_cndmask_b32_e64 v52, 0, 0x42800000, vcc_lo
	s_delay_alu instid0(VALU_DEP_2) | instskip(SKIP_3) | instid1(VALU_DEP_3)
	v_cmp_gt_f32_e64 s1, 0xc2fc0000, v58
	v_cndmask_b32_e64 v58, 0, 0xffffffc0, s0
	v_cmp_gt_f32_e64 s0, 0xc2fc0000, v51
	s_wait_alu depctr_va_sdst(0)
	v_cndmask_b32_e64 v50, 0, 0x42800000, s1
	s_delay_alu instid0(VALU_DEP_3) | instskip(NEXT) | instid1(VALU_DEP_3)
	v_ldexp_f32 v58, v46, v58
	v_cndmask_b32_e64 v51, 0, 0x42800000, s0
	v_fmac_f32_e32 v52, 0x3fb8aa3b, v97
	v_cndmask_b32_e64 v46, 0, 0xffffffc0, vcc_lo
	v_fmac_f32_e32 v50, 0x3fb8aa3b, v98
	v_cmp_gt_f32_e32 vcc_lo, 0xc2fc0000, v60
	v_fmac_f32_e32 v51, 0x3fb8aa3b, v99
	v_exp_f32_e32 v52, v52
	s_delay_alu instid0(VALU_DEP_3) | instskip(NEXT) | instid1(VALU_DEP_1)
	v_exp_f32_e32 v50, v50
	v_exp_f32_e32 v51, v51
	s_delay_alu instid0(TRANS32_DEP_3)
	v_ldexp_f32 v59, v52, v46
	v_cndmask_b32_e64 v46, 0, 0xffffffc0, s1
	s_wait_alu depctr_va_vcc(0)
	v_cndmask_b32_e64 v52, 0, 0x42800000, vcc_lo
.Ltmp78:
	.loc	2 263 15                        ; standard.py:263:15 @[ standard.py:293:36 @[ attention_fwd.py:42:38 ] ]
	v_add_f32_e32 v41, v49, v41
.Ltmp79:
	.loc	1 40 19                         ; attention_fwd.py:40:19
	v_cmp_gt_f32_e64 s1, 0xc2fc0000, v62
	v_cndmask_b32_e64 v62, 0, 0xffffffc0, vcc_lo
	s_delay_alu instid0(TRANS32_DEP_2) | instskip(SKIP_3) | instid1(VALU_DEP_3)
	v_ldexp_f32 v60, v50, v46
	v_cndmask_b32_e64 v46, 0, 0xffffffc0, s0
	v_fmac_f32_e32 v52, 0x3fb8aa3b, v102
	v_cmp_gt_f32_e64 s0, 0xc2fc0000, v61
	v_ldexp_f32 v61, v51, v46
	s_delay_alu instid0(VALU_DEP_3) | instskip(SKIP_1) | instid1(VALU_DEP_2)
	v_exp_f32_e32 v46, v52
	s_wait_alu depctr_va_sdst(0)
	v_cndmask_b32_e64 v50, 0, 0x42800000, s0
.Ltmp80:
	.loc	2 263 15                        ; standard.py:263:15 @[ standard.py:293:36 @[ attention_fwd.py:42:38 ] ]
	v_add_f32_e32 v41, v53, v41
.Ltmp81:
	.loc	1 40 19                         ; attention_fwd.py:40:19
	v_cndmask_b32_e64 v51, 0, 0x42800000, s1
	v_mul_f32_e32 v52, 0x3fb8aa3b, v105
	s_delay_alu instid0(VALU_DEP_3) | instskip(NEXT) | instid1(VALU_DEP_3)
	v_dual_fmac_f32 v50, 0x3fb8aa3b, v103 :: v_dual_add_f32 v41, v54, v41
	v_fmac_f32_e32 v51, 0x3fb8aa3b, v104
	s_delay_alu instid0(VALU_DEP_3) | instskip(NEXT) | instid1(VALU_DEP_3)
	v_cmp_gt_f32_e32 vcc_lo, 0xc2fc0000, v52
	v_exp_f32_e32 v63, v50
	v_ldexp_f32 v50, v46, v62
	v_cndmask_b32_e64 v46, 0, 0xffffffc0, s0
	s_wait_alu depctr_va_vcc(0)
	v_cndmask_b32_e64 v52, 0, 0x42800000, vcc_lo
	v_cmp_gt_f32_e64 s0, 0xc2fc0000, v92
	v_exp_f32_e32 v62, v51
	s_delay_alu instid0(VALU_DEP_2) | instskip(SKIP_1) | instid1(VALU_DEP_2)
	v_fmac_f32_e32 v52, 0x3fb8aa3b, v105
	s_wait_alu depctr_va_sdst(0)
	v_cndmask_b32_e64 v92, 0, 0x42800000, s0
.Ltmp82:
	.loc	2 263 15                        ; standard.py:263:15 @[ standard.py:293:36 @[ attention_fwd.py:42:38 ] ]
	v_add_f32_e32 v41, v55, v41
.Ltmp83:
	.loc	1 40 19                         ; attention_fwd.py:40:19
	v_ldexp_f32 v51, v63, v46
	v_cndmask_b32_e64 v46, 0, 0xffffffc0, s1
	v_exp_f32_e32 v63, v52
	s_delay_alu instid0(VALU_DEP_3) | instskip(SKIP_1) | instid1(VALU_DEP_3)
	v_dual_fmac_f32 v92, 0x3fb8aa3b, v107 :: v_dual_add_f32 v41, v56, v41
	v_cmp_gt_f32_e64 s1, 0xc2fc0000, v94
	v_ldexp_f32 v52, v62, v46
	v_cndmask_b32_e64 v46, 0, 0xffffffc0, vcc_lo
	v_cmp_gt_f32_e32 vcc_lo, 0xc2fc0000, v93
	v_cndmask_b32_e64 v94, 0, 0xffffffc0, s0
	s_delay_alu instid0(TRANS32_DEP_1) | instid1(VALU_DEP_3)
	v_ldexp_f32 v62, v63, v46
	v_exp_f32_e32 v46, v92
	s_wait_alu depctr_va_sdst(0)
	v_cndmask_b32_e64 v92, 0, 0x42800000, s1
.Ltmp84:
	.loc	2 263 15                        ; standard.py:263:15 @[ standard.py:293:36 @[ attention_fwd.py:42:38 ] ]
	v_add_f32_e32 v41, v57, v41
.Ltmp85:
	.loc	1 40 19                         ; attention_fwd.py:40:19
	s_wait_alu depctr_va_vcc(0)
	v_cndmask_b32_e64 v93, 0, 0x42800000, vcc_lo
	s_delay_alu instid0(VALU_DEP_3) | instskip(NEXT) | instid1(VALU_DEP_3)
	v_dual_mul_f32 v63, 0x3fb8aa3b, v111 :: v_dual_fmac_f32 v92, 0x3fb8aa3b, v110
.Ltmp86:
	.loc	2 263 15                        ; standard.py:263:15 @[ standard.py:293:36 @[ attention_fwd.py:42:38 ] ]
	v_add_f32_e32 v41, v58, v41
	s_delay_alu instid0(VALU_DEP_3) | instskip(NEXT) | instid1(VALU_DEP_3)
.Ltmp87:
	.loc	1 40 19                         ; attention_fwd.py:40:19
	v_fmac_f32_e32 v93, 0x3fb8aa3b, v108
	v_cmp_gt_f32_e64 s0, 0xc2fc0000, v63
	v_ldexp_f32 v63, v46, v94
	v_cndmask_b32_e64 v46, 0, 0xffffffc0, vcc_lo
.Ltmp88:
	.loc	2 263 15                        ; standard.py:263:15 @[ standard.py:293:36 @[ attention_fwd.py:42:38 ] ]
	v_add_f32_e32 v41, v59, v41
.Ltmp89:
	.loc	1 40 19                         ; attention_fwd.py:40:19
	v_exp_f32_e32 v93, v93
	s_wait_alu depctr_va_sdst(0)
	v_cndmask_b32_e64 v95, 0, 0x42800000, s0
	v_exp_f32_e32 v94, v92
	.loc	1 46 37                         ; attention_fwd.py:46:37
	s_and_not1_b32 vcc_lo, exec_lo, s3
.Ltmp90:
	.loc	2 263 15                        ; standard.py:263:15 @[ standard.py:293:36 @[ attention_fwd.py:42:38 ] ]
	v_add_f32_e32 v41, v60, v41
	s_delay_alu instid0(VALU_DEP_2) | instskip(NEXT) | instid1(VALU_DEP_2)
.Ltmp91:
	.loc	1 40 19                         ; attention_fwd.py:40:19
	v_fmac_f32_e32 v95, 0x3fb8aa3b, v111
.Ltmp92:
	.loc	2 263 15                        ; standard.py:263:15 @[ standard.py:293:36 @[ attention_fwd.py:42:38 ] ]
	v_add_f32_e32 v41, v61, v41
	s_delay_alu instid0(TRANS32_DEP_2) | instskip(SKIP_1) | instid1(VALU_DEP_4)
.Ltmp93:
	.loc	1 40 19                         ; attention_fwd.py:40:19
	v_ldexp_f32 v92, v93, v46
	v_cndmask_b32_e64 v46, 0, 0xffffffc0, s1
	v_exp_f32_e32 v95, v95
	s_delay_alu instid0(VALU_DEP_3)
.Ltmp94:
	.loc	2 263 15                        ; standard.py:263:15 @[ standard.py:293:36 @[ attention_fwd.py:42:38 ] ]
	v_add_f32_e32 v41, v50, v41
	s_delay_alu instid0(TRANS32_DEP_2) | instid1(VALU_DEP_2)
.Ltmp95:
	.loc	1 40 19                         ; attention_fwd.py:40:19
	v_ldexp_f32 v93, v94, v46
	v_cndmask_b32_e64 v46, 0, 0xffffffc0, s0
	s_delay_alu instid0(VALU_DEP_3)
.Ltmp96:
	.loc	2 263 15                        ; standard.py:263:15 @[ standard.py:293:36 @[ attention_fwd.py:42:38 ] ]
	v_add_f32_e32 v41, v51, v41
	s_delay_alu instid0(TRANS32_DEP_1) | instid1(VALU_DEP_2)
.Ltmp97:
	.loc	1 40 19                         ; attention_fwd.py:40:19
	v_ldexp_f32 v46, v95, v46
	s_delay_alu instid0(VALU_DEP_2) | instskip(NEXT) | instid1(VALU_DEP_1)
.Ltmp98:
	.loc	2 263 15                        ; standard.py:263:15 @[ standard.py:293:36 @[ attention_fwd.py:42:38 ] ]
	v_add_f32_e32 v41, v52, v41
	v_add_f32_e32 v41, v62, v41
	s_delay_alu instid0(VALU_DEP_1) | instskip(NEXT) | instid1(VALU_DEP_1)
	v_add_f32_e32 v41, v63, v41
	v_add_f32_e32 v41, v92, v41
	s_delay_alu instid0(VALU_DEP_1) | instskip(NEXT) | instid1(VALU_DEP_1)
	v_add_f32_e32 v41, v93, v41
	v_add_f32_e32 v94, v46, v41
	s_delay_alu instid0(VALU_DEP_1)
.Ltmp99:
	.loc	2 293 36                        ; standard.py:293:36 @[ attention_fwd.py:42:38 ]
	v_permlanex16_b32 v95, v94, s6, 0xfedcba98 op_sel:[1,0]
	s_wait_alu depctr_sa_sdst(0)
	s_cbranch_vccnz .LBB0_329
.Ltmp100:
; %bb.328:
	.loc	1 41 29                         ; attention_fwd.py:41:29
	v_sub_f32_e32 v39, v118, v39
	.loc	1 45 20                         ; attention_fwd.py:45:20
	v_lshl_add_u32 v106, v100, 1, v106
	.loc	1 46 27                         ; attention_fwd.py:46:27
	v_cvt_f16_f32_e64 v150, v62
	v_cvt_f16_f32_e64 v151, v61
	;; [unrolled: 1-line block ×3, first 2 shown]
	.loc	1 41 23                         ; attention_fwd.py:41:23
	v_mul_f32_e32 v41, 0x3fb8aa3b, v39
	.loc	1 45 20                         ; attention_fwd.py:45:20
	ds_load_u16 v62, v106 offset:6912
	ds_load_u16 v61, v106 offset:6656
	;; [unrolled: 1-line block ×3, first 2 shown]
	.loc	1 46 27                         ; attention_fwd.py:46:27
	v_cvt_f16_f32_e64 v154, v56
	.loc	1 41 23                         ; attention_fwd.py:41:23
	v_cmp_gt_f32_e32 vcc_lo, 0xc2fc0000, v41
	.loc	1 46 27                         ; attention_fwd.py:46:27
	v_cvt_f16_f32_e64 v155, v55
	v_cvt_f16_f32_e64 v156, v54
	;; [unrolled: 1-line block ×4, first 2 shown]
	.loc	1 41 23                         ; attention_fwd.py:41:23
	s_wait_alu depctr_va_vcc(0)
	v_cndmask_b32_e64 v41, 0, 0x42800000, vcc_lo
	.loc	1 46 27                         ; attention_fwd.py:46:27
	v_cvt_f16_f32_e64 v160, v43
	v_cvt_f16_f32_e64 v146, v36
	.loc	1 45 20                         ; attention_fwd.py:45:20
	ds_load_u16 v36, v106 offset:4864
	.loc	1 46 27                         ; attention_fwd.py:46:27
	v_cvt_f16_f32_e64 v147, v35
	.loc	1 41 23                         ; attention_fwd.py:41:23
	v_fmac_f32_e32 v41, 0x3fb8aa3b, v39
	.loc	1 45 20                         ; attention_fwd.py:45:20
	ds_load_u16 v35, v106 offset:4608
	.loc	1 46 27                         ; attention_fwd.py:46:27
	v_cvt_f16_f32_e32 v108, v92
	v_cvt_f16_f32_e64 v153, v59
	v_cvt_f16_f32_e64 v162, v34
	.loc	1 41 23                         ; attention_fwd.py:41:23
	v_exp_f32_e32 v39, v41
	v_cndmask_b32_e64 v41, 0, 0xffffffc0, vcc_lo
	.loc	1 46 27                         ; attention_fwd.py:46:27
	v_cvt_f16_f32_e32 v107, v93
	v_cvt_f16_f32_e64 v157, v53
	v_cvt_f16_f32_e64 v161, v42
	;; [unrolled: 1-line block ×3, first 2 shown]
	v_cvt_f16_f32_e32 v40, v40
	v_cvt_f16_f32_e32 v38, v38
	;; [unrolled: 1-line block ×4, first 2 shown]
	.loc	1 41 23                         ; attention_fwd.py:41:23
	v_ldexp_f32 v41, v39, v41
	.loc	1 46 27                         ; attention_fwd.py:46:27
	v_cvt_f16_f32_e32 v49, v49
	v_cvt_f16_f32_e32 v48, v48
	;; [unrolled: 1-line block ×3, first 2 shown]
	.loc	1 46 37 is_stmt 0               ; attention_fwd.py:46:37
	v_pack_b32_f16 v149, v38, v40
	.loc	1 43 20 is_stmt 1               ; attention_fwd.py:43:20
	v_dual_mul_f32 v24, v24, v41 :: v_dual_add_f32 v39, v94, v95
	.loc	1 45 20                         ; attention_fwd.py:45:20
	ds_load_u16 v45, v106 offset:7008
	s_wait_dscnt 0x5
	ds_load_u16_d16_hi v62, v106 offset:7040
	ds_load_u16 v56, v106 offset:6944
	ds_load_u16 v95, v106 offset:6976
	;; [unrolled: 1-line block ×3, first 2 shown]
	s_wait_dscnt 0x8
	ds_load_u16_d16_hi v61, v106 offset:6784
	ds_load_u16 v55, v106 offset:6688
	ds_load_u16 v94, v106 offset:6720
	;; [unrolled: 1-line block ×3, first 2 shown]
	s_wait_dscnt 0xb
	ds_load_u16_d16_hi v60, v106 offset:6528
	ds_load_u16 v54, v106 offset:6432
	.loc	1 43 20                         ; attention_fwd.py:43:20
	v_mul_f32_e32 v31, v31, v41
	v_mul_f32_e32 v29, v29, v41
	;; [unrolled: 1-line block ×17, first 2 shown]
	.loc	1 45 20                         ; attention_fwd.py:45:20
	s_wait_dscnt 0xa
	ds_load_u16_d16_hi v45, v106 offset:7136
	s_wait_dscnt 0x9
	ds_load_u16_d16_hi v56, v106 offset:7072
	ds_load_u16 v34, v106 offset:4352
	s_wait_dscnt 0x9
	ds_load_u16_d16_hi v44, v106 offset:6880
	ds_load_u16_d16_hi v95, v106 offset:7104
	s_wait_dscnt 0x9
	ds_load_u16_d16_hi v55, v106 offset:6816
	ds_load_u16 v99, v106 offset:2816
	s_wait_dscnt 0xa
	ds_load_u16_d16_hi v94, v106 offset:6848
	s_wait_dscnt 0xa
	ds_load_u16_d16_hi v43, v106 offset:6624
	;; [unrolled: 2-line block ×3, first 2 shown]
	ds_load_u16 v98, v106 offset:2560
	ds_load_u16 v105, v106 offset:4960
	;; [unrolled: 1-line block ×4, first 2 shown]
	ds_load_u16_d16_hi v36, v106 offset:4992
	ds_load_u16 v113, v106 offset:4896
	ds_load_u16 v117, v106 offset:4928
	;; [unrolled: 1-line block ×3, first 2 shown]
	ds_load_u16_d16_hi v35, v106 offset:4736
	ds_load_u16 v112, v106 offset:4640
	ds_load_u16 v116, v106 offset:4672
	;; [unrolled: 1-line block ×3, first 2 shown]
	.loc	1 43 20                         ; attention_fwd.py:43:20
	v_mul_f32_e32 v12, v12, v41
	v_mul_f32_e32 v11, v11, v41
	v_mul_f32_e32 v10, v10, v41
	v_mul_f32_e32 v9, v9, v41
	v_mul_f32_e32 v8, v8, v41
	v_mul_f32_e32 v7, v7, v41
	v_mul_f32_e32 v6, v6, v41
	v_mul_f32_e32 v5, v5, v41
	v_mul_f32_e32 v4, v4, v41
	v_mul_f32_e32 v3, v3, v41
	v_mul_f32_e32 v2, v2, v41
	v_mul_f32_e32 v1, v1, v41
	v_mul_f32_e32 v0, v0, v41
	.loc	1 46 37                         ; attention_fwd.py:46:37
	v_pack_b32_f16 v148, v146, v37
	v_pack_b32_f16 v147, v162, v147
	;; [unrolled: 1-line block ×3, first 2 shown]
	.loc	1 42 28                         ; attention_fwd.py:42:28
	v_fmac_f32_e32 v39, v109, v41
	.loc	1 45 20                         ; attention_fwd.py:45:20
	s_wait_dscnt 0x13
	ds_load_u16_d16_hi v34, v106 offset:4480
	ds_load_u16 v111, v106 offset:4384
	ds_load_u16 v121, v106 offset:2912
	;; [unrolled: 1-line block ×4, first 2 shown]
	s_wait_dscnt 0x14
	ds_load_u16_d16_hi v99, v106 offset:2944
	ds_load_u16 v125, v106 offset:2848
	ds_load_u16 v129, v106 offset:2880
	;; [unrolled: 1-line block ×3, first 2 shown]
	s_wait_dscnt 0x14
	ds_load_u16_d16_hi v98, v106 offset:2688
	ds_load_u16 v124, v106 offset:2592
	ds_load_u16 v93, v106 offset:6464
	s_wait_dscnt 0x15
	ds_load_u16_d16_hi v92, v106 offset:6336
	ds_load_u16 v42, v106 offset:6240
	ds_load_u16_d16_hi v105, v106 offset:5088
	s_wait_dscnt 0x17
	ds_load_u16_d16_hi v59, v106 offset:6272
	ds_load_u16 v53, v106 offset:6176
	s_wait_dscnt 0x17
	ds_load_u16_d16_hi v113, v106 offset:5024
	s_wait_dscnt 0x17
	ds_load_u16_d16_hi v117, v106 offset:5056
	;; [unrolled: 2-line block ×6, first 2 shown]
	.loc	1 43 20                         ; attention_fwd.py:43:20
	v_dual_mul_f32 v30, v30, v41 :: v_dual_mov_b32 v109, v39
	.loc	1 46 27                         ; attention_fwd.py:46:27
	v_cvt_f16_f32_e32 v58, v58
	v_cvt_f16_f32_e32 v57, v57
	;; [unrolled: 1-line block ×3, first 2 shown]
	.loc	1 45 20                         ; attention_fwd.py:45:20
	s_wait_dscnt 0x15
	ds_load_u16_d16_hi v111, v106 offset:4512
	ds_load_u16 v97, v106 offset:2304
	ds_load_u16 v133, v106 offset:768
	;; [unrolled: 1-line block ×3, first 2 shown]
	s_wait_dscnt 0x17
	ds_load_u16_d16_hi v114, v106 offset:4288
	ds_load_u16 v102, v106 offset:4192
	ds_load_u16_d16_hi v121, v106 offset:3040
	s_wait_dscnt 0x19
	ds_load_u16_d16_hi v33, v106 offset:4224
	ds_load_u16 v110, v106 offset:4128
	s_wait_dscnt 0x19
	ds_load_u16_d16_hi v125, v106 offset:2976
	ds_load_u16 v132, v106 offset:512
	s_wait_dscnt 0x1a
	ds_load_u16_d16_hi v129, v106 offset:3008
	s_wait_dscnt 0x1a
	ds_load_u16_d16_hi v120, v106 offset:2784
	;; [unrolled: 2-line block ×3, first 2 shown]
	ds_load_u16 v136, v106 offset:576
	ds_load_u16 v138, v106 offset:96
	;; [unrolled: 1-line block ×5, first 2 shown]
	ds_load_u16 v130, v106
	ds_load_u16 v142, v106 offset:32
	ds_load_u16 v128, v106 offset:2624
	ds_load_u16 v119, v106 offset:2400
	.loc	1 46 27                         ; attention_fwd.py:46:27
	v_cvt_f16_f32_e32 v63, v63
	v_cvt_f16_f32_e32 v32, v52
	;; [unrolled: 1-line block ×3, first 2 shown]
	.loc	1 45 20                         ; attention_fwd.py:45:20
	s_wait_dscnt 0x22
	ds_load_u16_d16_hi v93, v106 offset:6592
	s_wait_dscnt 0x21
	ds_load_u16_d16_hi v42, v106 offset:6368
	;; [unrolled: 2-line block ×3, first 2 shown]
	.loc	1 46 27                         ; attention_fwd.py:46:27
	v_cvt_f16_f32_e32 v38, v50
	.loc	1 45 20                         ; attention_fwd.py:45:20
	s_wait_dscnt 0x18
	ds_load_u16_d16_hi v97, v106 offset:2432
	ds_load_u16 v123, v106 offset:2336
	ds_load_u16 v141, v106 offset:864
	;; [unrolled: 1-line block ×4, first 2 shown]
	s_wait_dscnt 0x1c
	ds_load_u16_d16_hi v133, v106 offset:896
	ds_load_u16 v145, v106 offset:800
	ds_load_u16 v137, v106 offset:832
	;; [unrolled: 1-line block ×3, first 2 shown]
	s_wait_dscnt 0x18
	ds_load_u16_d16_hi v132, v106 offset:640
	ds_load_u16 v144, v106 offset:544
	ds_load_u16 v139, v106 offset:352
	s_wait_dscnt 0x16
	ds_load_u16_d16_hi v138, v106 offset:224
	s_wait_dscnt 0x16
	ds_load_u16_d16_hi v135, v106 offset:448
	;; [unrolled: 2-line block ×3, first 2 shown]
	ds_load_u16 v143, v106 offset:288
	s_wait_dscnt 0x17
	ds_load_u16_d16_hi v134, v106 offset:192
	s_wait_dscnt 0x16
	ds_load_u16_d16_hi v142, v106 offset:160
	ds_load_u16_d16_hi v130, v106 offset:128
	s_wait_dscnt 0x17
	ds_load_u16_d16_hi v128, v106 offset:2752
	s_wait_dscnt 0x17
	;; [unrolled: 2-line block ×3, first 2 shown]
	ds_load_u16_d16_hi v123, v106 offset:2464
	ds_load_u16 v127, v106 offset:2368
	s_wait_dscnt 0x13
	ds_load_u16_d16_hi v126, v106 offset:2240
	ds_load_u16 v118, v106 offset:2144
	s_wait_dscnt 0x14
	ds_load_u16_d16_hi v96, v106 offset:2176
	ds_load_u16 v122, v106 offset:2080
	ds_load_u16_d16_hi v141, v106 offset:992
	s_wait_dscnt 0x15
	ds_load_u16_d16_hi v145, v106 offset:928
	s_wait_dscnt 0x15
	;; [unrolled: 2-line block ×4, first 2 shown]
	ds_load_u16_d16_hi v144, v106 offset:672
	ds_load_u16_d16_hi v136, v106 offset:704
	s_wait_dscnt 0x15
	ds_load_u16_d16_hi v139, v106 offset:480
	s_wait_dscnt 0x12
	;; [unrolled: 2-line block ×5, first 2 shown]
	ds_load_u16_d16_hi v122, v106 offset:2208
	ds_load_u16_d16_hi v115, v106 offset:4544
	;; [unrolled: 1-line block ×4, first 2 shown]
	.loc	1 46 37                         ; attention_fwd.py:46:37
	v_wmma_f32_16x16x16_f16 v[0:7], v[130:133], v[146:149], v[0:7]
	v_pack_b32_f16 v133, v49, v157
	v_pack_b32_f16 v132, v47, v48
	;; [unrolled: 1-line block ×4, first 2 shown]
	s_wait_dscnt 0x8
	v_wmma_f32_16x16x16_f16 v[16:23], v[134:137], v[146:149], v[16:23]
	s_wait_dscnt 0x7
	v_wmma_f32_16x16x16_f16 v[24:31], v[138:141], v[146:149], v[24:31]
	;; [unrolled: 2-line block ×3, first 2 shown]
	v_wmma_f32_16x16x16_f16 v[0:7], v[96:99], v[130:133], v[0:7]
	v_pack_b32_f16 v99, v152, v151
	v_pack_b32_f16 v98, v58, v153
	;; [unrolled: 1-line block ×4, first 2 shown]
	s_wait_dscnt 0x3
	v_wmma_f32_16x16x16_f16 v[8:15], v[122:125], v[130:133], v[8:15]
	v_wmma_f32_16x16x16_f16 v[16:23], v[126:129], v[130:133], v[16:23]
	;; [unrolled: 1-line block ×4, first 2 shown]
	v_pack_b32_f16 v35, v107, v46
	v_pack_b32_f16 v34, v63, v108
	;; [unrolled: 1-line block ×4, first 2 shown]
	s_wait_dscnt 0x0
	v_wmma_f32_16x16x16_f16 v[8:15], v[110:113], v[96:99], v[8:15]
	v_wmma_f32_16x16x16_f16 v[16:23], v[114:117], v[96:99], v[16:23]
	;; [unrolled: 1-line block ×4, first 2 shown]
	s_delay_alu instid0(VALU_DEP_4) | instskip(NEXT) | instid1(VALU_DEP_4)
	v_wmma_f32_16x16x16_f16 v[8:15], v[53:56], v[32:35], v[8:15]
	v_wmma_f32_16x16x16_f16 v[16:23], v[92:95], v[32:35], v[16:23]
	s_delay_alu instid0(VALU_DEP_4)
	v_wmma_f32_16x16x16_f16 v[24:31], v[42:45], v[32:35], v[24:31]
.LBB0_329:
	.loc	1 17 46                         ; attention_fwd.py:17:46
	s_lshr_b32 s0, s46, 1
	.loc	1 17 33 is_stmt 0               ; attention_fwd.py:17:33
	s_wait_alu depctr_sa_sdst(0)
	v_or3_b32 v32, v100, s0, s35
	.loc	1 50 23 is_stmt 1               ; attention_fwd.py:50:23
	s_mov_b32 s0, exec_lo
	s_delay_alu instid0(VALU_DEP_1)
	.loc	1 21 47                         ; attention_fwd.py:21:47
	v_cmpx_gt_i32_e64 s34, v32
	s_cbranch_execz .LBB0_331
; %bb.330:                              ; %.critedge
	.loc	1 48 16                         ; attention_fwd.py:48:16
	v_div_scale_f32 v33, null, v109, v109, v31
	v_div_scale_f32 v34, null, v109, v109, v30
	;; [unrolled: 1-line block ×3, first 2 shown]
	s_delay_alu instid0(VALU_DEP_3) | instskip(SKIP_1) | instid1(VALU_DEP_3)
	v_rcp_f32_e32 v35, v33
	v_div_scale_f32 v40, null, v109, v109, v28
	v_rcp_f32_e32 v37, v34
	s_delay_alu instid0(VALU_DEP_2) | instskip(SKIP_1) | instid1(VALU_DEP_2)
	v_rcp_f32_e32 v38, v36
	v_div_scale_f32 v39, vcc_lo, v31, v109, v31
	v_rcp_f32_e32 v44, v40
	v_div_scale_f32 v43, s0, v30, v109, v30
	v_fma_f32 v41, -v33, v35, 1.0
	v_div_scale_f32 v50, null, v109, v109, v27
	s_delay_alu instid0(TRANS32_DEP_3) | instskip(NEXT) | instid1(TRANS32_DEP_2)
	v_fma_f32 v42, -v34, v37, 1.0
	v_fma_f32 v45, -v36, v38, 1.0
	.loc	1 49 69                         ; attention_fwd.py:49:69
	v_mul_lo_u32 v52, s5, v79
	v_mul_lo_u32 v54, s5, v78
	s_delay_alu instid0(TRANS32_DEP_1) | instskip(SKIP_3) | instid1(VALU_DEP_4)
	.loc	1 48 16                         ; attention_fwd.py:48:16
	v_fma_f32 v46, -v40, v44, 1.0
	v_fmac_f32_e32 v35, v41, v35
	v_dual_fmac_f32 v37, v42, v37 :: v_dual_fmac_f32 v38, v45, v38
	v_div_scale_f32 v41, s1, v29, v109, v29
	v_fmac_f32_e32 v44, v46, v44
	s_delay_alu instid0(VALU_DEP_4) | instskip(SKIP_1) | instid1(VALU_DEP_4)
	v_mul_f32_e32 v42, v39, v35
	.loc	1 49 69                         ; attention_fwd.py:49:69
	v_mul_lo_u32 v56, s5, v77
	.loc	1 48 16                         ; attention_fwd.py:48:16
	v_mul_f32_e32 v47, v41, v38
	.loc	1 49 69                         ; attention_fwd.py:49:69
	v_mul_lo_u32 v58, s5, v76
	.loc	1 49 51 is_stmt 0               ; attention_fwd.py:49:51
	v_ashrrev_i32_e32 v53, 31, v52
	.loc	1 48 16 is_stmt 1               ; attention_fwd.py:48:16
	v_fma_f32 v48, -v33, v42, v39
	v_mul_f32_e32 v45, v43, v37
	v_fma_f32 v46, -v36, v47, v41
	.loc	1 49 69                         ; attention_fwd.py:49:69
	v_mul_lo_u32 v60, s5, v75
	v_mul_lo_u32 v73, s5, v73
	.loc	1 48 16                         ; attention_fwd.py:48:16
	v_fmac_f32_e32 v42, v48, v35
	v_fma_f32 v49, -v34, v45, v43
	v_div_scale_f32 v48, s2, v28, v109, v28
	.loc	1 49 51                         ; attention_fwd.py:49:51
	v_ashrrev_i32_e32 v55, 31, v54
	s_delay_alu instid0(VALU_DEP_4) | instskip(NEXT) | instid1(VALU_DEP_4)
	.loc	1 48 16                         ; attention_fwd.py:48:16
	v_fma_f32 v33, -v33, v42, v39
	v_fmac_f32_e32 v45, v49, v37
	v_rcp_f32_e32 v49, v50
	.loc	1 49 69                         ; attention_fwd.py:49:69
	v_mul_lo_u32 v62, s5, v74
	.loc	1 49 51 is_stmt 0               ; attention_fwd.py:49:51
	v_ashrrev_i32_e32 v57, 31, v56
	.loc	1 48 16 is_stmt 1               ; attention_fwd.py:48:16
	s_wait_alu depctr_va_vcc(0)
	v_div_fmas_f32 v33, v33, v35, v42
	v_fma_f32 v34, -v34, v45, v43
	s_wait_alu depctr_sa_sdst(0)
	s_mov_b32 vcc_lo, s0
	.loc	1 49 51                         ; attention_fwd.py:49:51
	v_lshlrev_b64_e32 v[52:53], 1, v[52:53]
	v_ashrrev_i32_e32 v59, 31, v58
	.loc	1 48 16                         ; attention_fwd.py:48:16
	v_div_fixup_f32 v31, v33, v109, v31
	s_wait_alu depctr_sa_sdst(0)
	v_div_fmas_f32 v34, v34, v37, v45
	v_div_scale_f32 v37, s0, v27, v109, v27
	v_fmac_f32_e32 v47, v46, v38
	s_mov_b32 vcc_lo, s1
	s_delay_alu instid0(VALU_DEP_3) | instskip(SKIP_1) | instid1(VALU_DEP_3)
	v_div_fixup_f32 v30, v34, v109, v30
	v_div_scale_f32 v33, null, v109, v109, v26
	v_fma_f32 v36, -v36, v47, v41
	v_fma_f32 v41, -v50, v49, 1.0
	.loc	1 49 69                         ; attention_fwd.py:49:69
	v_mul_lo_u32 v72, s5, v72
	.loc	1 49 51 is_stmt 0               ; attention_fwd.py:49:51
	v_lshlrev_b64_e32 v[54:55], 1, v[54:55]
	v_ashrrev_i32_e32 v61, 31, v60
	.loc	1 48 16 is_stmt 1               ; attention_fwd.py:48:16
	s_wait_alu depctr_sa_sdst(0)
	v_div_fmas_f32 v36, v36, v38, v47
	v_fmac_f32_e32 v49, v41, v49
	v_div_scale_f32 v38, null, v109, v109, v25
	s_mov_b32 vcc_lo, s2
	v_div_fixup_f32 v34, v36, v109, v29
	v_mul_f32_e32 v36, v37, v49
	v_rcp_f32_e32 v41, v38
	.loc	1 49 51                         ; attention_fwd.py:49:51
	v_lshlrev_b64_e32 v[56:57], 1, v[56:57]
	v_ashrrev_i32_e32 v74, 31, v73
	v_ashrrev_i32_e32 v63, 31, v62
	.loc	1 48 16                         ; attention_fwd.py:48:16
	v_fma_f32 v42, -v50, v36, v37
	v_mul_f32_e32 v39, v48, v44
	.loc	1 49 51                         ; attention_fwd.py:49:51
	v_lshlrev_b64_e32 v[58:59], 1, v[58:59]
	.loc	1 49 69 is_stmt 0               ; attention_fwd.py:49:69
	v_mul_lo_u32 v71, s5, v71
	v_mul_lo_u32 v76, s5, v70
	.loc	1 48 16 is_stmt 1               ; attention_fwd.py:48:16
	v_fmac_f32_e32 v36, v42, v49
	v_fma_f32 v35, -v40, v39, v48
	v_div_scale_f32 v42, null, v109, v109, v24
	.loc	1 49 69                         ; attention_fwd.py:49:69
	v_mul_lo_u32 v69, s5, v69
	s_delay_alu instid0(VALU_DEP_4) | instskip(NEXT) | instid1(VALU_DEP_4)
	.loc	1 48 16                         ; attention_fwd.py:48:16
	v_fma_f32 v37, -v50, v36, v37
	v_fmac_f32_e32 v39, v35, v44
	v_rcp_f32_e32 v35, v33
	.loc	1 49 51                         ; attention_fwd.py:49:51
	v_lshlrev_b64_e32 v[60:61], 1, v[60:61]
	v_lshlrev_b64_e32 v[74:75], 1, v[73:74]
	v_ashrrev_i32_e32 v73, 31, v72
	.loc	1 48 16                         ; attention_fwd.py:48:16
	v_fma_f32 v29, -v40, v39, v48
	.loc	1 49 51                         ; attention_fwd.py:49:51
	v_lshlrev_b64_e32 v[62:63], 1, v[62:63]
	.loc	1 49 69 is_stmt 0               ; attention_fwd.py:49:69
	v_mul_lo_u32 v68, s5, v68
	.loc	1 49 51                         ; attention_fwd.py:49:51
	v_ashrrev_i32_e32 v77, 31, v76
	v_lshlrev_b64_e32 v[78:79], 1, v[72:73]
	.loc	1 48 16 is_stmt 1               ; attention_fwd.py:48:16
	s_wait_alu depctr_sa_sdst(0)
	v_div_fmas_f32 v39, v29, v44, v39
	v_fma_f32 v40, -v33, v35, 1.0
	.loc	1 50 30                         ; attention_fwd.py:50:30
	v_cvt_f16_f32_e32 v29, v30
	v_cvt_f16_f32_e32 v30, v34
	.loc	1 48 16                         ; attention_fwd.py:48:16
	s_mov_b32 vcc_lo, s0
	v_div_fixup_f32 v28, v39, v109, v28
	v_fmac_f32_e32 v35, v40, v35
	v_div_scale_f32 v40, s1, v26, v109, v26
	v_fma_f32 v39, -v38, v41, 1.0
	v_div_scale_f32 v44, s2, v25, v109, v25
	s_delay_alu instid0(VALU_DEP_3) | instskip(SKIP_1) | instid1(VALU_DEP_4)
	v_mul_f32_e32 v34, v40, v35
	.loc	1 49 51                         ; attention_fwd.py:49:51
	v_ashrrev_i32_e32 v72, 31, v71
	.loc	1 48 16                         ; attention_fwd.py:48:16
	v_fmac_f32_e32 v41, v39, v41
	v_rcp_f32_e32 v39, v42
	.loc	1 49 51                         ; attention_fwd.py:49:51
	v_ashrrev_i32_e32 v70, 31, v69
	.loc	1 48 16                         ; attention_fwd.py:48:16
	v_fma_f32 v43, -v33, v34, v40
	.loc	1 49 51                         ; attention_fwd.py:49:51
	v_lshlrev_b64_e32 v[71:72], 1, v[71:72]
	.loc	1 49 69 is_stmt 0               ; attention_fwd.py:49:69
	v_mul_lo_u32 v66, s5, v66
	v_mul_lo_u32 v64, s5, v64
	.loc	1 50 30 is_stmt 1               ; attention_fwd.py:50:30
	v_cvt_f16_f32_e32 v31, v31
	.loc	1 48 16                         ; attention_fwd.py:48:16
	v_fmac_f32_e32 v34, v43, v35
	s_wait_alu depctr_sa_sdst(0)
	v_div_fmas_f32 v36, v37, v49, v36
	v_div_scale_f32 v37, null, v109, v109, v23
	v_fma_f32 v45, -v42, v39, 1.0
	v_fma_f32 v33, -v33, v34, v40
	s_delay_alu instid0(VALU_DEP_4) | instskip(NEXT) | instid1(VALU_DEP_4)
	v_div_fixup_f32 v27, v36, v109, v27
	v_rcp_f32_e32 v36, v37
	s_mov_b32 vcc_lo, s1
	v_fmac_f32_e32 v39, v45, v39
	v_div_scale_f32 v45, s0, v24, v109, v24
	s_wait_alu depctr_sa_sdst(0)
	v_div_fmas_f32 v33, v33, v35, v34
	s_mov_b32 vcc_lo, s2
	.loc	1 50 30                         ; attention_fwd.py:50:30
	v_cvt_f16_f32_e32 v28, v28
	.loc	1 48 16                         ; attention_fwd.py:48:16
	v_mul_f32_e32 v34, v45, v39
	.loc	1 50 30                         ; attention_fwd.py:50:30
	v_cvt_f16_f32_e32 v27, v27
	.loc	1 48 16                         ; attention_fwd.py:48:16
	v_fma_f32 v35, -v37, v36, 1.0
	v_mul_f32_e32 v43, v44, v41
	v_div_fixup_f32 v26, v33, v109, v26
	s_delay_alu instid0(VALU_DEP_3) | instskip(NEXT) | instid1(VALU_DEP_3)
	v_fmac_f32_e32 v36, v35, v36
	v_fma_f32 v40, -v38, v43, v44
	v_div_scale_f32 v35, s1, v23, v109, v23
	s_delay_alu instid0(VALU_DEP_4) | instskip(NEXT) | instid1(VALU_DEP_3)
	.loc	1 50 30                         ; attention_fwd.py:50:30
	v_cvt_f16_f32_e32 v26, v26
	.loc	1 48 16                         ; attention_fwd.py:48:16
	v_fmac_f32_e32 v43, v40, v41
	v_div_scale_f32 v40, null, v109, v109, v22
	s_delay_alu instid0(VALU_DEP_2) | instskip(SKIP_1) | instid1(VALU_DEP_1)
	v_fma_f32 v33, -v38, v43, v44
	v_fma_f32 v38, -v42, v34, v45
	v_fmac_f32_e32 v34, v38, v39
	s_wait_alu depctr_sa_sdst(0)
	s_delay_alu instid0(VALU_DEP_3)
	v_div_fmas_f32 v33, v33, v41, v43
	v_mul_f32_e32 v38, v35, v36
	v_div_scale_f32 v43, null, v109, v109, v21
	s_mov_b32 vcc_lo, s0
	v_div_fixup_f32 v25, v33, v109, v25
	v_fma_f32 v33, -v42, v34, v45
	v_fma_f32 v42, -v37, v38, v35
	v_rcp_f32_e32 v41, v40
	s_delay_alu instid0(VALU_DEP_3)
	.loc	1 50 30                         ; attention_fwd.py:50:30
	v_cvt_f16_f32_e32 v25, v25
	.loc	1 48 16                         ; attention_fwd.py:48:16
	s_wait_alu depctr_sa_sdst(0)
	v_div_fmas_f32 v33, v33, v39, v34
	v_fmac_f32_e32 v38, v42, v36
	v_rcp_f32_e32 v39, v43
	v_div_scale_f32 v42, null, v109, v109, v20
	s_delay_alu instid0(VALU_DEP_3) | instskip(NEXT) | instid1(VALU_DEP_3)
	v_div_fixup_f32 v24, v33, v109, v24
	v_fma_f32 v33, -v37, v38, v35
	s_delay_alu instid0(TRANS32_DEP_2) | instskip(NEXT) | instid1(VALU_DEP_4)
	v_fma_f32 v34, -v40, v41, 1.0
	v_rcp_f32_e32 v44, v42
	s_mov_b32 vcc_lo, s1
	v_div_scale_f32 v45, s1, v21, v109, v21
	s_delay_alu instid0(TRANS32_DEP_2) | instskip(SKIP_3) | instid1(VALU_DEP_3)
	v_fma_f32 v37, -v43, v39, 1.0
	s_wait_alu depctr_sa_sdst(0)
	v_div_fmas_f32 v33, v33, v36, v38
	v_div_scale_f32 v38, null, v109, v109, v19
	v_fmac_f32_e32 v39, v37, v39
	s_delay_alu instid0(TRANS32_DEP_1) | instskip(SKIP_3) | instid1(VALU_DEP_3)
	v_fma_f32 v37, -v42, v44, 1.0
	v_fmac_f32_e32 v41, v34, v41
	v_div_scale_f32 v34, s0, v22, v109, v22
	v_rcp_f32_e32 v46, v38
	v_fmac_f32_e32 v44, v37, v44
	v_div_scale_f32 v37, s2, v20, v109, v20
	s_delay_alu instid0(VALU_DEP_3) | instskip(SKIP_2) | instid1(VALU_DEP_4)
	v_mul_f32_e32 v35, v34, v41
	v_div_fixup_f32 v33, v33, v109, v23
	.loc	1 50 30                         ; attention_fwd.py:50:30
	v_cvt_f16_f32_e32 v23, v24
	.loc	1 48 16                         ; attention_fwd.py:48:16
	v_mul_f32_e32 v47, v37, v44
	s_mov_b32 vcc_lo, s0
	v_fma_f32 v36, -v40, v35, v34
	.loc	1 50 30                         ; attention_fwd.py:50:30
	v_cvt_f16_f32_e32 v24, v33
	.loc	1 48 16                         ; attention_fwd.py:48:16
	v_fma_f32 v48, -v38, v46, 1.0
	s_delay_alu instid0(VALU_DEP_3) | instskip(NEXT) | instid1(VALU_DEP_2)
	v_dual_fmac_f32 v35, v36, v41 :: v_dual_mul_f32 v36, v45, v39
	v_fmac_f32_e32 v46, v48, v46
	s_delay_alu instid0(VALU_DEP_2) | instskip(NEXT) | instid1(VALU_DEP_3)
	v_fma_f32 v33, -v40, v35, v34
	v_fma_f32 v34, -v43, v36, v45
	;; [unrolled: 1-line block ×3, first 2 shown]
	s_delay_alu instid0(VALU_DEP_2) | instskip(SKIP_2) | instid1(VALU_DEP_3)
	v_fmac_f32_e32 v36, v34, v39
	s_wait_alu depctr_sa_sdst(0)
	v_div_fmas_f32 v33, v33, v41, v35
	v_fmac_f32_e32 v47, v40, v44
	v_div_scale_f32 v34, null, v109, v109, v18
	v_div_scale_f32 v35, s0, v19, v109, v19
	s_delay_alu instid0(VALU_DEP_4) | instskip(SKIP_1) | instid1(VALU_DEP_4)
	v_div_fixup_f32 v22, v33, v109, v22
	v_fma_f32 v33, -v43, v36, v45
	v_rcp_f32_e32 v40, v34
	v_fma_f32 v37, -v42, v47, v37
	v_mul_f32_e32 v41, v35, v46
	s_mov_b32 vcc_lo, s1
	v_div_scale_f32 v42, null, v109, v109, v17
	s_wait_alu depctr_sa_sdst(0)
	v_div_fmas_f32 v33, v33, v39, v36
	s_mov_b32 vcc_lo, s2
	s_wait_alu depctr_sa_sdst(0)
	v_div_fmas_f32 v36, v37, v44, v47
	v_fma_f32 v37, -v38, v41, v35
	v_fma_f32 v39, -v34, v40, 1.0
	v_div_fixup_f32 v21, v33, v109, v21
	s_mov_b32 vcc_lo, s0
	v_div_fixup_f32 v33, v36, v109, v20
	s_delay_alu instid0(VALU_DEP_3) | instskip(SKIP_2) | instid1(VALU_DEP_3)
	v_dual_fmac_f32 v41, v37, v46 :: v_dual_fmac_f32 v40, v39, v40
	v_rcp_f32_e32 v36, v42
	.loc	1 50 30                         ; attention_fwd.py:50:30
	v_cvt_f16_f32_e32 v20, v22
	v_cvt_f16_f32_e32 v22, v33
	s_delay_alu instid0(VALU_DEP_3) | instskip(SKIP_3) | instid1(VALU_DEP_3)
	.loc	1 48 16                         ; attention_fwd.py:48:16
	v_fma_f32 v33, -v38, v41, v35
	v_div_scale_f32 v38, null, v109, v109, v16
	v_div_scale_f32 v37, s1, v18, v109, v18
	s_wait_alu depctr_sa_sdst(0)
	v_div_fmas_f32 v33, v33, v46, v41
	s_delay_alu instid0(VALU_DEP_3) | instskip(NEXT) | instid1(TRANS32_DEP_2)
	v_rcp_f32_e32 v41, v38
	v_fma_f32 v39, -v42, v36, 1.0
	v_mul_f32_e32 v35, v37, v40
	s_mov_b32 vcc_lo, s1
	v_div_fixup_f32 v19, v33, v109, v19
	v_div_scale_f32 v33, null, v109, v109, v15
	s_delay_alu instid0(VALU_DEP_3) | instskip(SKIP_1) | instid1(TRANS32_DEP_1)
	v_fma_f32 v43, -v34, v35, v37
	v_div_scale_f32 v46, null, v109, v109, v13
	v_fma_f32 v44, -v38, v41, 1.0
	v_fmac_f32_e32 v36, v39, v36
	v_div_scale_f32 v39, s0, v17, v109, v17
	v_fmac_f32_e32 v35, v43, v40
	s_delay_alu instid0(VALU_DEP_4) | instskip(SKIP_1) | instid1(VALU_DEP_4)
	v_fmac_f32_e32 v41, v44, v41
	v_div_scale_f32 v44, s2, v16, v109, v16
	v_mul_f32_e32 v43, v39, v36
	s_delay_alu instid0(VALU_DEP_4)
	v_fma_f32 v34, -v34, v35, v37
	v_rcp_f32_e32 v37, v33
	.loc	1 50 30                         ; attention_fwd.py:50:30
	v_cvt_f16_f32_e32 v21, v21
	v_cvt_f16_f32_e32 v19, v19
	.loc	1 48 16                         ; attention_fwd.py:48:16
	v_fma_f32 v45, -v42, v43, v39
	s_wait_alu depctr_sa_sdst(0)
	v_div_fmas_f32 v34, v34, v40, v35
	v_mul_f32_e32 v35, v44, v41
	s_mov_b32 vcc_lo, s0
	v_fmac_f32_e32 v43, v45, v36
	s_delay_alu instid0(VALU_DEP_3) | instskip(SKIP_2) | instid1(VALU_DEP_4)
	v_div_fixup_f32 v18, v34, v109, v18
	v_fma_f32 v40, -v33, v37, 1.0
	v_div_scale_f32 v45, null, v109, v109, v14
	v_fma_f32 v34, -v42, v43, v39
	v_fma_f32 v39, -v38, v35, v44
	v_div_scale_f32 v42, s1, v15, v109, v15
	.loc	1 50 30                         ; attention_fwd.py:50:30
	v_cvt_f16_f32_e32 v18, v18
	.loc	1 48 16                         ; attention_fwd.py:48:16
	s_wait_alu depctr_sa_sdst(0)
	v_div_fmas_f32 v34, v34, v36, v43
	v_rcp_f32_e32 v36, v46
	v_fmac_f32_e32 v35, v39, v41
	s_mov_b32 vcc_lo, s2
	s_delay_alu instid0(VALU_DEP_2) | instskip(NEXT) | instid1(VALU_DEP_2)
	v_div_fixup_f32 v17, v34, v109, v17
	v_fma_f32 v34, -v38, v35, v44
	s_delay_alu instid0(TRANS32_DEP_1) | instskip(SKIP_1) | instid1(VALU_DEP_2)
	v_fma_f32 v44, -v46, v36, 1.0
	s_wait_alu depctr_sa_sdst(0)
	v_div_fmas_f32 v34, v34, v41, v35
	v_div_scale_f32 v41, null, v109, v109, v12
	s_mov_b32 vcc_lo, s1
	v_fmac_f32_e32 v36, v44, v36
	v_fmac_f32_e32 v37, v40, v37
	v_rcp_f32_e32 v40, v45
	v_div_fixup_f32 v34, v34, v109, v16
	v_rcp_f32_e32 v44, v41
	s_delay_alu instid0(VALU_DEP_2) | instskip(NEXT) | instid1(VALU_DEP_1)
	v_mul_f32_e32 v39, v42, v37
	v_fma_f32 v38, -v33, v39, v42
	s_delay_alu instid0(TRANS32_DEP_2) | instskip(NEXT) | instid1(VALU_DEP_1)
	v_fma_f32 v43, -v45, v40, 1.0
	v_dual_fmac_f32 v39, v38, v37 :: v_dual_fmac_f32 v40, v43, v40
	v_div_scale_f32 v43, s0, v14, v109, v14
	v_div_scale_f32 v38, s2, v13, v109, v13
	s_delay_alu instid0(VALU_DEP_3) | instskip(NEXT) | instid1(VALU_DEP_3)
	v_fma_f32 v16, -v33, v39, v42
	v_mul_f32_e32 v35, v43, v40
	s_delay_alu instid0(VALU_DEP_3) | instskip(NEXT) | instid1(VALU_DEP_2)
	v_mul_f32_e32 v42, v38, v36
	v_fma_f32 v33, -v45, v35, v43
	s_delay_alu instid0(VALU_DEP_1) | instskip(NEXT) | instid1(VALU_DEP_3)
	v_fmac_f32_e32 v35, v33, v40
	v_fma_f32 v33, -v46, v42, v38
	s_delay_alu instid0(VALU_DEP_1)
	v_fmac_f32_e32 v42, v33, v36
	s_wait_alu depctr_sa_sdst(0)
	v_div_fmas_f32 v37, v16, v37, v39
	.loc	1 50 30                         ; attention_fwd.py:50:30
	v_cvt_f16_f32_e32 v16, v17
	v_cvt_f16_f32_e32 v17, v34
	.loc	1 48 16                         ; attention_fwd.py:48:16
	v_fma_f32 v34, -v45, v35, v43
	s_mov_b32 vcc_lo, s0
	v_div_fixup_f32 v15, v37, v109, v15
	v_div_scale_f32 v37, null, v109, v109, v11
	v_fma_f32 v33, -v41, v44, 1.0
	s_wait_alu depctr_sa_sdst(0)
	v_div_fmas_f32 v34, v34, v40, v35
	v_fma_f32 v35, -v46, v42, v38
	v_rcp_f32_e32 v38, v37
	v_div_scale_f32 v39, null, v109, v109, v10
	v_fmac_f32_e32 v44, v33, v44
	v_div_scale_f32 v33, s0, v12, v109, v12
	s_mov_b32 vcc_lo, s2
	v_div_fixup_f32 v14, v34, v109, v14
	s_wait_alu depctr_sa_sdst(0)
	v_div_fmas_f32 v35, v35, v36, v42
	v_mul_f32_e32 v34, v33, v44
	s_delay_alu instid0(TRANS32_DEP_1)
	v_fma_f32 v36, -v37, v38, 1.0
	v_rcp_f32_e32 v40, v39
	v_div_scale_f32 v42, null, v109, v109, v9
	v_div_fixup_f32 v35, v35, v109, v13
	v_fma_f32 v13, -v41, v34, v33
	v_fmac_f32_e32 v38, v36, v38
	v_div_scale_f32 v36, s1, v11, v109, v11
	s_mov_b32 vcc_lo, s0
	v_fmac_f32_e32 v34, v13, v44
	s_delay_alu instid0(TRANS32_DEP_1)
	v_fma_f32 v45, -v39, v40, 1.0
	v_mul_f32_e32 v43, v36, v38
	.loc	1 50 30                         ; attention_fwd.py:50:30
	v_cvt_f16_f32_e32 v13, v14
	v_cvt_f16_f32_e32 v14, v35
	.loc	1 48 16                         ; attention_fwd.py:48:16
	v_fma_f32 v33, -v41, v34, v33
	v_fmac_f32_e32 v40, v45, v40
	v_fma_f32 v41, -v37, v43, v36
	v_rcp_f32_e32 v35, v42
	.loc	1 50 30                         ; attention_fwd.py:50:30
	v_cvt_f16_f32_e32 v15, v15
	.loc	1 48 16                         ; attention_fwd.py:48:16
	s_wait_alu depctr_sa_sdst(0)
	v_div_fmas_f32 v33, v33, v44, v34
	v_div_scale_f32 v34, s0, v10, v109, v10
	v_fmac_f32_e32 v43, v41, v38
	s_mov_b32 vcc_lo, s1
	s_delay_alu instid0(VALU_DEP_3) | instskip(SKIP_1) | instid1(VALU_DEP_3)
	v_div_fixup_f32 v12, v33, v109, v12
	v_div_scale_f32 v44, null, v109, v109, v8
	v_fma_f32 v33, -v37, v43, v36
	v_mul_f32_e32 v36, v34, v40
	v_fma_f32 v41, -v42, v35, 1.0
	s_delay_alu instid0(VALU_DEP_4)
	v_rcp_f32_e32 v37, v44
	s_wait_alu depctr_sa_sdst(0)
	v_div_fmas_f32 v33, v33, v38, v43
	v_fma_f32 v38, -v39, v36, v34
	v_div_scale_f32 v43, null, v109, v109, v7
	v_fmac_f32_e32 v35, v41, v35
	s_delay_alu instid0(VALU_DEP_4) | instskip(NEXT) | instid1(VALU_DEP_4)
	v_div_fixup_f32 v33, v33, v109, v11
	v_fmac_f32_e32 v36, v38, v40
	s_delay_alu instid0(VALU_DEP_4)
	v_rcp_f32_e32 v38, v43
	v_div_scale_f32 v41, s2, v9, v109, v9
	.loc	1 50 30                         ; attention_fwd.py:50:30
	v_cvt_f16_f32_e32 v11, v12
	v_cvt_f16_f32_e32 v12, v33
	.loc	1 48 16                         ; attention_fwd.py:48:16
	v_fma_f32 v33, -v39, v36, v34
	v_fma_f32 v46, -v44, v37, 1.0
	s_mov_b32 vcc_lo, s0
	s_delay_alu instid0(TRANS32_DEP_1) | instskip(NEXT) | instid1(VALU_DEP_2)
	v_fma_f32 v39, -v43, v38, 1.0
	v_fmac_f32_e32 v37, v46, v37
	v_div_scale_f32 v46, s1, v8, v109, v8
	s_wait_alu depctr_sa_sdst(0)
	v_div_fmas_f32 v33, v33, v40, v36
	v_dual_fmac_f32 v38, v39, v38 :: v_dual_mul_f32 v45, v41, v35
	s_delay_alu instid0(VALU_DEP_3)
	v_mul_f32_e32 v34, v46, v37
	v_div_scale_f32 v39, s0, v7, v109, v7
	s_mov_b32 vcc_lo, s2
	v_fma_f32 v47, -v42, v45, v41
	v_fma_f32 v40, -v44, v34, v46
	v_div_fixup_f32 v10, v33, v109, v10
	s_delay_alu instid0(VALU_DEP_2) | instskip(SKIP_1) | instid1(VALU_DEP_2)
	v_dual_fmac_f32 v45, v47, v35 :: v_dual_fmac_f32 v34, v40, v37
	v_div_scale_f32 v40, null, v109, v109, v6
	v_fma_f32 v36, -v42, v45, v41
	s_delay_alu instid0(VALU_DEP_2) | instskip(SKIP_1) | instid1(VALU_DEP_1)
	v_rcp_f32_e32 v41, v40
	s_wait_alu depctr_sa_sdst(0)
	v_div_fmas_f32 v35, v36, v35, v45
	v_mul_f32_e32 v36, v39, v38
	s_mov_b32 vcc_lo, s1
	s_delay_alu instid0(VALU_DEP_2) | instskip(SKIP_1) | instid1(VALU_DEP_3)
	v_div_fixup_f32 v33, v35, v109, v9
	v_fma_f32 v9, -v44, v34, v46
	v_fma_f32 v35, -v43, v36, v39
	v_div_scale_f32 v44, null, v109, v109, v2
	s_wait_alu depctr_sa_sdst(0)
	s_delay_alu instid0(VALU_DEP_3) | instskip(NEXT) | instid1(VALU_DEP_3)
	v_div_fmas_f32 v34, v9, v37, v34
	v_fmac_f32_e32 v36, v35, v38
	.loc	1 50 30                         ; attention_fwd.py:50:30
	v_cvt_f16_f32_e32 v9, v10
	.loc	1 48 16                         ; attention_fwd.py:48:16
	s_mov_b32 vcc_lo, s0
	v_div_scale_f32 v37, null, v109, v109, v5
	v_div_fixup_f32 v10, v34, v109, v8
	v_fma_f32 v34, -v43, v36, v39
	.loc	1 50 30                         ; attention_fwd.py:50:30
	v_cvt_f16_f32_e32 v8, v33
	s_delay_alu instid0(VALU_DEP_4)
	.loc	1 48 16                         ; attention_fwd.py:48:16
	v_rcp_f32_e32 v33, v37
	v_fma_f32 v35, -v40, v41, 1.0
	v_div_scale_f32 v39, null, v109, v109, v3
	s_wait_alu depctr_sa_sdst(0)
	v_div_fmas_f32 v34, v34, v38, v36
	v_div_scale_f32 v38, null, v109, v109, v4
	v_div_scale_f32 v43, s0, v5, v109, v5
	s_delay_alu instid0(VALU_DEP_3) | instskip(NEXT) | instid1(VALU_DEP_3)
	v_div_fixup_f32 v7, v34, v109, v7
	v_rcp_f32_e32 v42, v38
	s_delay_alu instid0(TRANS32_DEP_2) | instskip(SKIP_3) | instid1(TRANS32_DEP_2)
	v_fma_f32 v36, -v37, v33, 1.0
	v_rcp_f32_e32 v48, v44
	.loc	1 50 30                         ; attention_fwd.py:50:30
	v_cvt_f16_f32_e32 v10, v10
	v_cvt_f16_f32_e32 v7, v7
	.loc	1 48 16                         ; attention_fwd.py:48:16
	v_fma_f32 v47, -v38, v42, 1.0
	s_delay_alu instid0(TRANS32_DEP_1) | instskip(NEXT) | instid1(VALU_DEP_2)
	v_fma_f32 v50, -v44, v48, 1.0
	v_fmac_f32_e32 v42, v47, v42
	v_div_scale_f32 v47, s1, v4, v109, v4
	v_fmac_f32_e32 v33, v36, v33
	v_rcp_f32_e32 v36, v39
	v_fmac_f32_e32 v41, v35, v41
	v_div_scale_f32 v35, vcc_lo, v6, v109, v6
	v_fmac_f32_e32 v48, v50, v48
	v_div_scale_f32 v50, s3, v2, v109, v2
	s_delay_alu instid0(VALU_DEP_3) | instskip(NEXT) | instid1(VALU_DEP_1)
	v_mul_f32_e32 v34, v35, v41
	v_fma_f32 v45, -v40, v34, v35
	s_delay_alu instid0(VALU_DEP_1) | instskip(NEXT) | instid1(TRANS32_DEP_1)
	v_fmac_f32_e32 v34, v45, v41
	v_fma_f32 v45, -v39, v36, 1.0
	s_delay_alu instid0(VALU_DEP_2) | instskip(SKIP_2) | instid1(VALU_DEP_4)
	v_fma_f32 v35, -v40, v34, v35
	v_mul_f32_e32 v40, v47, v42
	v_mul_f32_e32 v46, v43, v33
	v_fmac_f32_e32 v36, v45, v36
	v_div_scale_f32 v45, s2, v3, v109, v3
	s_wait_alu depctr_va_vcc(0)
	v_div_fmas_f32 v34, v35, v41, v34
	v_fma_f32 v49, -v37, v46, v43
	s_mov_b32 vcc_lo, s0
	v_div_scale_f32 v93, s0, v1, v109, v1
	s_delay_alu instid0(VALU_DEP_3) | instskip(NEXT) | instid1(VALU_DEP_3)
	v_div_fixup_f32 v6, v34, v109, v6
	v_fmac_f32_e32 v46, v49, v33
	v_mul_f32_e32 v49, v45, v36
	s_delay_alu instid0(VALU_DEP_3) | instskip(NEXT) | instid1(VALU_DEP_3)
	.loc	1 50 30                         ; attention_fwd.py:50:30
	v_cvt_f16_f32_e32 v94, v6
	.loc	1 48 16                         ; attention_fwd.py:48:16
	v_fma_f32 v35, -v37, v46, v43
	v_fma_f32 v37, -v38, v40, v47
	v_mul_f32_e32 v43, v50, v48
	v_fma_f32 v41, -v39, v49, v45
	s_wait_alu depctr_sa_sdst(0)
	v_div_fmas_f32 v33, v35, v33, v46
	v_fmac_f32_e32 v40, v37, v42
	v_fma_f32 v35, -v44, v43, v50
	v_fmac_f32_e32 v49, v41, v36
	s_mov_b32 vcc_lo, s1
	v_div_fixup_f32 v33, v33, v109, v5
	v_fma_f32 v5, -v38, v40, v47
	v_fmac_f32_e32 v43, v35, v48
	v_fma_f32 v34, -v39, v49, v45
	.loc	1 49 69                         ; attention_fwd.py:49:69
	v_mul_lo_u32 v38, s5, v86
	.loc	1 50 30                         ; attention_fwd.py:50:30
	v_cvt_f16_f32_e32 v95, v33
	.loc	1 48 16                         ; attention_fwd.py:48:16
	s_wait_alu depctr_sa_sdst(0)
	v_div_fmas_f32 v35, v5, v42, v40
	.loc	1 49 39                         ; attention_fwd.py:49:39
	v_mul_lo_u32 v5, s4, v32
	.loc	1 48 16                         ; attention_fwd.py:48:16
	v_fma_f32 v37, -v44, v43, v50
	s_mov_b32 vcc_lo, s2
	.loc	1 49 69                         ; attention_fwd.py:49:69
	v_mul_lo_u32 v32, s5, v91
	.loc	1 48 16                         ; attention_fwd.py:48:16
	s_wait_alu depctr_sa_sdst(0)
	v_div_fmas_f32 v34, v34, v36, v49
	s_mov_b32 vcc_lo, s3
	v_div_fixup_f32 v4, v35, v109, v4
	s_wait_alu depctr_sa_sdst(0)
	v_div_fmas_f32 v36, v37, v48, v43
	.loc	1 49 21                         ; attention_fwd.py:49:21
	v_ashrrev_i32_e32 v6, 31, v5
	.loc	1 48 16                         ; attention_fwd.py:48:16
	v_div_fixup_f32 v3, v34, v109, v3
	.loc	1 49 69                         ; attention_fwd.py:49:69
	v_mul_lo_u32 v40, s5, v85
	.loc	1 50 30                         ; attention_fwd.py:50:30
	v_cvt_f16_f32_e32 v96, v4
	.loc	1 48 16                         ; attention_fwd.py:48:16
	v_div_fixup_f32 v34, v36, v109, v2
	.loc	1 49 21                         ; attention_fwd.py:49:21
	v_lshlrev_b64_e32 v[4:5], 1, v[5:6]
	.loc	1 49 69 is_stmt 0               ; attention_fwd.py:49:69
	v_mul_lo_u32 v2, s5, v90
	.loc	1 49 51                         ; attention_fwd.py:49:51
	v_ashrrev_i32_e32 v33, 31, v32
	.loc	1 49 69                         ; attention_fwd.py:49:69
	v_mul_lo_u32 v36, s5, v87
	.loc	1 50 30 is_stmt 1               ; attention_fwd.py:50:30
	v_cvt_f16_f32_e32 v6, v34
	.loc	1 49 69                         ; attention_fwd.py:49:69
	v_mul_lo_u32 v34, s5, v89
	.loc	1 49 21 is_stmt 0               ; attention_fwd.py:49:21
	v_add_co_u32 v98, vcc_lo, s36, v4
	.loc	1 49 69                         ; attention_fwd.py:49:69
	v_mul_lo_u32 v4, s5, v88
	.loc	1 50 30 is_stmt 1               ; attention_fwd.py:50:30
	v_cvt_f16_f32_e32 v97, v3
	.loc	1 49 51                         ; attention_fwd.py:49:51
	v_ashrrev_i32_e32 v3, 31, v2
	v_lshlrev_b64_e32 v[32:33], 1, v[32:33]
	.loc	1 49 21 is_stmt 0               ; attention_fwd.py:49:21
	s_wait_alu depctr_va_vcc(0)
	v_add_co_ci_u32_e64 v99, null, s37, v5, vcc_lo
	.loc	1 49 51                         ; attention_fwd.py:49:51
	v_ashrrev_i32_e32 v35, 31, v34
	.loc	1 49 69                         ; attention_fwd.py:49:69
	v_mul_lo_u32 v42, s5, v84
	.loc	1 49 51                         ; attention_fwd.py:49:51
	v_ashrrev_i32_e32 v5, 31, v4
	v_lshlrev_b64_e32 v[2:3], 1, v[2:3]
	v_ashrrev_i32_e32 v37, 31, v36
	.loc	1 49 69                         ; attention_fwd.py:49:69
	v_mul_lo_u32 v44, s5, v83
	.loc	1 49 51                         ; attention_fwd.py:49:51
	v_lshlrev_b64_e32 v[34:35], 1, v[34:35]
	v_ashrrev_i32_e32 v39, 31, v38
	.loc	1 49 69                         ; attention_fwd.py:49:69
	v_mul_lo_u32 v46, s5, v82
	.loc	1 49 51                         ; attention_fwd.py:49:51
	v_add_co_u32 v32, vcc_lo, v98, v32
	v_lshlrev_b64_e32 v[4:5], 1, v[4:5]
	v_ashrrev_i32_e32 v41, 31, v40
	.loc	1 49 69                         ; attention_fwd.py:49:69
	v_mul_lo_u32 v48, s5, v81
	.loc	1 49 51                         ; attention_fwd.py:49:51
	s_wait_alu depctr_va_vcc(0)
	v_add_co_ci_u32_e64 v33, null, v99, v33, vcc_lo
	v_add_co_u32 v2, vcc_lo, v98, v2
	v_lshlrev_b64_e32 v[36:37], 1, v[36:37]
	v_ashrrev_i32_e32 v43, 31, v42
	.loc	1 49 69                         ; attention_fwd.py:49:69
	v_mul_lo_u32 v50, s5, v80
	.loc	1 49 51                         ; attention_fwd.py:49:51
	s_wait_alu depctr_va_vcc(0)
	v_add_co_ci_u32_e64 v3, null, v99, v3, vcc_lo
	v_add_co_u32 v34, vcc_lo, v98, v34
	v_lshlrev_b64_e32 v[38:39], 1, v[38:39]
	v_ashrrev_i32_e32 v45, 31, v44
	s_wait_alu depctr_va_vcc(0)
	v_add_co_ci_u32_e64 v35, null, v99, v35, vcc_lo
	v_add_co_u32 v4, vcc_lo, v98, v4
	v_lshlrev_b64_e32 v[40:41], 1, v[40:41]
	v_ashrrev_i32_e32 v47, 31, v46
	;; [unrolled: 5-line block ×4, first 2 shown]
	s_wait_alu depctr_va_vcc(0)
	v_add_co_ci_u32_e64 v39, null, v99, v39, vcc_lo
	v_add_co_u32 v40, vcc_lo, v98, v40
	v_lshlrev_b64_e32 v[46:47], 1, v[46:47]
	s_wait_alu depctr_va_vcc(0)
	v_add_co_ci_u32_e64 v41, null, v99, v41, vcc_lo
	v_add_co_u32 v42, vcc_lo, v98, v42
	v_lshlrev_b64_e32 v[48:49], 1, v[48:49]
	;; [unrolled: 4-line block ×3, first 2 shown]
	s_wait_alu depctr_va_vcc(0)
	v_add_co_ci_u32_e64 v45, null, v99, v45, vcc_lo
	v_add_co_u32 v46, vcc_lo, v98, v46
	s_wait_alu depctr_va_vcc(0)
	v_add_co_ci_u32_e64 v47, null, v99, v47, vcc_lo
	v_add_co_u32 v48, vcc_lo, v98, v48
	;; [unrolled: 3-line block ×8, first 2 shown]
	.loc	1 49 69                         ; attention_fwd.py:49:69
	v_mul_lo_u32 v80, s5, v67
	.loc	1 49 51                         ; attention_fwd.py:49:51
	s_wait_alu depctr_va_vcc(0)
	v_add_co_ci_u32_e64 v61, null, v99, v61, vcc_lo
	v_add_co_u32 v62, vcc_lo, v98, v62
	s_wait_alu depctr_va_vcc(0)
	v_add_co_ci_u32_e64 v63, null, v99, v63, vcc_lo
	v_add_co_u32 v73, vcc_lo, v98, v74
	s_wait_alu depctr_va_vcc(0)
	v_add_co_ci_u32_e64 v74, null, v99, v75, vcc_lo
	v_lshlrev_b64_e32 v[75:76], 1, v[76:77]
	v_lshlrev_b64_e32 v[82:83], 1, v[69:70]
	v_ashrrev_i32_e32 v69, 31, v68
	.loc	1 48 16 is_stmt 1               ; attention_fwd.py:48:16
	v_div_scale_f32 v77, null, v109, v109, v0
	.loc	1 49 51                         ; attention_fwd.py:49:51
	v_ashrrev_i32_e32 v81, 31, v80
	.loc	1 48 16                         ; attention_fwd.py:48:16
	v_div_scale_f32 v90, null, v109, v109, v1
	.loc	1 49 51                         ; attention_fwd.py:49:51
	v_add_co_u32 v78, vcc_lo, v98, v78
	s_wait_alu depctr_va_vcc(0)
	v_add_co_ci_u32_e64 v79, null, v99, v79, vcc_lo
	v_add_co_u32 v71, vcc_lo, v98, v71
	v_lshlrev_b64_e32 v[67:68], 1, v[68:69]
	.loc	1 48 16                         ; attention_fwd.py:48:16
	v_rcp_f32_e32 v91, v77
	.loc	1 49 51                         ; attention_fwd.py:49:51
	s_wait_alu depctr_va_vcc(0)
	v_add_co_ci_u32_e64 v72, null, v99, v72, vcc_lo
	v_add_co_u32 v75, vcc_lo, v98, v75
	v_lshlrev_b64_e32 v[69:70], 1, v[80:81]
	.loc	1 48 16                         ; attention_fwd.py:48:16
	v_rcp_f32_e32 v92, v90
	.loc	1 49 51                         ; attention_fwd.py:49:51
	s_wait_alu depctr_va_vcc(0)
	v_add_co_ci_u32_e64 v76, null, v99, v76, vcc_lo
	v_add_co_u32 v82, vcc_lo, v98, v82
	s_wait_alu depctr_va_vcc(0)
	v_add_co_ci_u32_e64 v83, null, v99, v83, vcc_lo
	v_add_co_u32 v84, vcc_lo, v98, v67
	v_ashrrev_i32_e32 v67, 31, v66
	s_wait_alu depctr_va_vcc(0)
	v_add_co_ci_u32_e64 v85, null, v99, v68, vcc_lo
	v_add_co_u32 v68, vcc_lo, v98, v69
	s_wait_alu depctr_va_vcc(0)
	v_add_co_ci_u32_e64 v69, null, v99, v70, vcc_lo
	.loc	1 48 16                         ; attention_fwd.py:48:16
	v_fma_f32 v70, -v77, v91, 1.0
	.loc	1 49 69                         ; attention_fwd.py:49:69
	v_mul_lo_u32 v80, s5, v65
	.loc	1 49 51 is_stmt 0               ; attention_fwd.py:49:51
	v_lshlrev_b64_e32 v[65:66], 1, v[66:67]
	.loc	1 48 16 is_stmt 1               ; attention_fwd.py:48:16
	v_fma_f32 v67, -v90, v92, 1.0
	s_delay_alu instid0(VALU_DEP_4) | instskip(SKIP_1) | instid1(VALU_DEP_3)
	v_fmac_f32_e32 v91, v70, v91
	v_div_scale_f32 v70, vcc_lo, v0, v109, v0
	v_fmac_f32_e32 v92, v67, v92
	.loc	1 49 51                         ; attention_fwd.py:49:51
	v_add_co_u32 v86, s1, v98, v65
	s_delay_alu instid0(VALU_DEP_3)
	.loc	1 48 16                         ; attention_fwd.py:48:16
	v_mul_f32_e32 v100, v70, v91
	.loc	1 49 51                         ; attention_fwd.py:49:51
	s_wait_alu depctr_va_sdst(0)
	v_add_co_ci_u32_e64 v87, null, v99, v66, s1
	.loc	1 48 16                         ; attention_fwd.py:48:16
	v_mul_f32_e32 v102, v93, v92
	.loc	1 49 69                         ; attention_fwd.py:49:69
	v_subrev_nc_u32_e32 v66, s5, v64
	.loc	1 48 16                         ; attention_fwd.py:48:16
	v_fma_f32 v89, -v77, v100, v70
	.loc	1 49 51                         ; attention_fwd.py:49:51
	v_ashrrev_i32_e32 v65, 31, v64
	v_ashrrev_i32_e32 v81, 31, v80
	.loc	1 48 16                         ; attention_fwd.py:48:16
	v_fma_f32 v103, -v90, v102, v93
	.loc	1 49 69                         ; attention_fwd.py:49:69
	v_subrev_nc_u32_e32 v88, s5, v66
	.loc	1 48 16                         ; attention_fwd.py:48:16
	v_fmac_f32_e32 v100, v89, v91
	.loc	1 49 51                         ; attention_fwd.py:49:51
	v_ashrrev_i32_e32 v67, 31, v66
	v_lshlrev_b64_e32 v[64:65], 1, v[64:65]
	.loc	1 48 16                         ; attention_fwd.py:48:16
	v_fmac_f32_e32 v102, v103, v92
	.loc	1 49 51                         ; attention_fwd.py:49:51
	v_ashrrev_i32_e32 v89, 31, v88
	.loc	1 48 16                         ; attention_fwd.py:48:16
	v_fma_f32 v70, -v77, v100, v70
	.loc	1 49 51                         ; attention_fwd.py:49:51
	v_lshlrev_b64_e32 v[66:67], 1, v[66:67]
	v_lshlrev_b64_e32 v[80:81], 1, v[80:81]
	.loc	1 48 16                         ; attention_fwd.py:48:16
	v_fma_f32 v77, -v90, v102, v93
	.loc	1 49 69                         ; attention_fwd.py:49:69
	v_subrev_nc_u32_e32 v90, s5, v88
	.loc	1 48 16                         ; attention_fwd.py:48:16
	s_wait_alu depctr_va_vcc(0)
	v_div_fmas_f32 v70, v70, v91, v100
	s_mov_b32 vcc_lo, s0
	.loc	1 49 51                         ; attention_fwd.py:49:51
	v_lshlrev_b64_e32 v[88:89], 1, v[88:89]
	.loc	1 48 16                         ; attention_fwd.py:48:16
	s_wait_alu depctr_sa_sdst(0)
	v_div_fmas_f32 v77, v77, v92, v102
	.loc	1 49 69                         ; attention_fwd.py:49:69
	v_mul_lo_u32 v92, s5, v101
	.loc	1 49 51 is_stmt 0               ; attention_fwd.py:49:51
	v_ashrrev_i32_e32 v91, 31, v90
	.loc	1 48 16 is_stmt 1               ; attention_fwd.py:48:16
	v_div_fixup_f32 v70, v70, v109, v0
	.loc	1 49 51                         ; attention_fwd.py:49:51
	v_add_co_u32 v66, vcc_lo, v98, v66
	.loc	1 48 16                         ; attention_fwd.py:48:16
	v_div_fixup_f32 v77, v77, v109, v1
	s_delay_alu instid0(VALU_DEP_4)
	.loc	1 49 51                         ; attention_fwd.py:49:51
	v_lshlrev_b64_e32 v[0:1], 1, v[90:91]
	s_wait_alu depctr_va_vcc(0)
	v_add_co_ci_u32_e64 v67, null, v99, v67, vcc_lo
	v_ashrrev_i32_e32 v93, 31, v92
	v_add_co_u32 v88, vcc_lo, v98, v88
	s_wait_alu depctr_va_vcc(0)
	v_add_co_ci_u32_e64 v89, null, v99, v89, vcc_lo
	s_delay_alu instid0(VALU_DEP_3) | instskip(SKIP_4) | instid1(VALU_DEP_4)
	v_lshlrev_b64_e32 v[90:91], 1, v[92:93]
	v_add_co_u32 v0, vcc_lo, v98, v0
	s_wait_alu depctr_va_vcc(0)
	v_add_co_ci_u32_e64 v1, null, v99, v1, vcc_lo
	.loc	1 50 30                         ; attention_fwd.py:50:30
	v_cvt_f16_f32_e32 v70, v70
	.loc	1 49 51                         ; attention_fwd.py:49:51
	v_add_co_u32 v90, vcc_lo, v98, v90
	s_wait_alu depctr_va_vcc(0)
	v_add_co_ci_u32_e64 v91, null, v99, v91, vcc_lo
	.loc	1 50 30                         ; attention_fwd.py:50:30
	v_cvt_f16_f32_e32 v77, v77
	.loc	1 49 51                         ; attention_fwd.py:49:51
	v_add_co_u32 v64, vcc_lo, v98, v64
	v_add_co_u32 v80, s1, v98, v80
	s_wait_alu depctr_va_vcc(0)
	v_add_co_ci_u32_e64 v65, null, v99, v65, vcc_lo
	s_wait_alu depctr_va_sdst(0)
	v_add_co_ci_u32_e64 v81, null, v99, v81, s1
	.loc	1 50 23                         ; attention_fwd.py:50:23
	s_clause 0x1f
	global_store_b16 v[90:91], v70, off
	global_store_b16 v[0:1], v77, off
	;; [unrolled: 1-line block ×32, first 2 shown]
.LBB0_331:                              ; %.critedge60
	.loc	1 50 4                          ; attention_fwd.py:50:4
	s_nop 0
	s_sendmsg sendmsg(MSG_DEALLOC_VGPRS)
	s_endpgm
.Ltmp101:
	.section	.rodata,"a",@progbits
	.p2align	6, 0x0
	.amdhsa_kernel attention_fwd_kernel
		.amdhsa_group_segment_fixed_size 0
		.amdhsa_private_segment_fixed_size 0
		.amdhsa_kernarg_size 88
		.amdhsa_user_sgpr_count 2
		.amdhsa_user_sgpr_dispatch_ptr 0
		.amdhsa_user_sgpr_queue_ptr 0
		.amdhsa_user_sgpr_kernarg_segment_ptr 1
		.amdhsa_user_sgpr_dispatch_id 0
		.amdhsa_user_sgpr_private_segment_size 0
		.amdhsa_wavefront_size32 1
		.amdhsa_uses_dynamic_stack 0
		.amdhsa_enable_private_segment 0
		.amdhsa_system_sgpr_workgroup_id_x 1
		.amdhsa_system_sgpr_workgroup_id_y 1
		.amdhsa_system_sgpr_workgroup_id_z 1
		.amdhsa_system_sgpr_workgroup_info 0
		.amdhsa_system_vgpr_workitem_id 0
		.amdhsa_next_free_vgpr 231
		.amdhsa_next_free_sgpr 105
		.amdhsa_reserve_vcc 1
		.amdhsa_float_round_mode_32 0
		.amdhsa_float_round_mode_16_64 0
		.amdhsa_float_denorm_mode_32 3
		.amdhsa_float_denorm_mode_16_64 3
		.amdhsa_fp16_overflow 0
		.amdhsa_workgroup_processor_mode 1
		.amdhsa_memory_ordered 1
		.amdhsa_forward_progress 1
		.amdhsa_inst_pref_size 255
		.amdhsa_round_robin_scheduling 0
		.amdhsa_exception_fp_ieee_invalid_op 0
		.amdhsa_exception_fp_denorm_src 0
		.amdhsa_exception_fp_ieee_div_zero 0
		.amdhsa_exception_fp_ieee_overflow 0
		.amdhsa_exception_fp_ieee_underflow 0
		.amdhsa_exception_fp_ieee_inexact 0
		.amdhsa_exception_int_div_zero 0
	.end_amdhsa_kernel
	.text
.Lfunc_end0:
	.size	attention_fwd_kernel, .Lfunc_end0-attention_fwd_kernel
	.cfi_endproc
                                        ; -- End function
	.set attention_fwd_kernel.num_vgpr, 231
	.set attention_fwd_kernel.num_agpr, 0
	.set attention_fwd_kernel.numbered_sgpr, 105
	.set attention_fwd_kernel.num_named_barrier, 0
	.set attention_fwd_kernel.private_seg_size, 0
	.set attention_fwd_kernel.uses_vcc, 1
	.set attention_fwd_kernel.uses_flat_scratch, 0
	.set attention_fwd_kernel.has_dyn_sized_stack, 0
	.set attention_fwd_kernel.has_recursion, 0
	.set attention_fwd_kernel.has_indirect_call, 0
	.section	.AMDGPU.csdata,"",@progbits
; Kernel info:
; codeLenInByte = 35304
; TotalNumSgprs: 107
; NumVgprs: 231
; ScratchSize: 0
; MemoryBound: 0
; FloatMode: 240
; IeeeMode: 1
; LDSByteSize: 0 bytes/workgroup (compile time only)
; SGPRBlocks: 0
; VGPRBlocks: 28
; NumSGPRsForWavesPerEU: 107
; NumVGPRsForWavesPerEU: 231
; Occupancy: 6
; WaveLimiterHint : 0
; COMPUTE_PGM_RSRC2:SCRATCH_EN: 0
; COMPUTE_PGM_RSRC2:USER_SGPR: 2
; COMPUTE_PGM_RSRC2:TRAP_HANDLER: 0
; COMPUTE_PGM_RSRC2:TGID_X_EN: 1
; COMPUTE_PGM_RSRC2:TGID_Y_EN: 1
; COMPUTE_PGM_RSRC2:TGID_Z_EN: 1
; COMPUTE_PGM_RSRC2:TIDIG_COMP_CNT: 0
	.text
	.p2alignl 7, 3214868480
	.fill 96, 4, 3214868480
	.section	.AMDGPU.gpr_maximums,"",@progbits
	.set amdgpu.max_num_vgpr, 0
	.set amdgpu.max_num_agpr, 0
	.set amdgpu.max_num_sgpr, 0
	.set amdgpu.max_num_named_barrier, 0
	.text
	.section	.debug_abbrev,"",@progbits
	.byte	1                               ; Abbreviation Code
	.byte	17                              ; DW_TAG_compile_unit
	.byte	1                               ; DW_CHILDREN_yes
	.byte	37                              ; DW_AT_producer
	.byte	14                              ; DW_FORM_strp
	.byte	19                              ; DW_AT_language
	.byte	5                               ; DW_FORM_data2
	.byte	3                               ; DW_AT_name
	.byte	14                              ; DW_FORM_strp
	.byte	16                              ; DW_AT_stmt_list
	.byte	23                              ; DW_FORM_sec_offset
	.byte	27                              ; DW_AT_comp_dir
	.byte	14                              ; DW_FORM_strp
	.byte	17                              ; DW_AT_low_pc
	.byte	1                               ; DW_FORM_addr
	.byte	18                              ; DW_AT_high_pc
	.byte	6                               ; DW_FORM_data4
	.byte	0                               ; EOM(1)
	.byte	0                               ; EOM(2)
	.byte	2                               ; Abbreviation Code
	.byte	46                              ; DW_TAG_subprogram
	.byte	0                               ; DW_CHILDREN_no
	.byte	3                               ; DW_AT_name
	.byte	14                              ; DW_FORM_strp
	.byte	32                              ; DW_AT_inline
	.byte	11                              ; DW_FORM_data1
	.byte	0                               ; EOM(1)
	.byte	0                               ; EOM(2)
	.byte	3                               ; Abbreviation Code
	.byte	46                              ; DW_TAG_subprogram
	.byte	1                               ; DW_CHILDREN_yes
	.byte	17                              ; DW_AT_low_pc
	.byte	1                               ; DW_FORM_addr
	.byte	18                              ; DW_AT_high_pc
	.byte	6                               ; DW_FORM_data4
	.byte	49                              ; DW_AT_abstract_origin
	.byte	19                              ; DW_FORM_ref4
	.byte	0                               ; EOM(1)
	.byte	0                               ; EOM(2)
	.byte	4                               ; Abbreviation Code
	.byte	29                              ; DW_TAG_inlined_subroutine
	.byte	1                               ; DW_CHILDREN_yes
	.byte	49                              ; DW_AT_abstract_origin
	.byte	19                              ; DW_FORM_ref4
	.byte	85                              ; DW_AT_ranges
	.byte	23                              ; DW_FORM_sec_offset
	.byte	88                              ; DW_AT_call_file
	.byte	11                              ; DW_FORM_data1
	.byte	89                              ; DW_AT_call_line
	.byte	11                              ; DW_FORM_data1
	.byte	87                              ; DW_AT_call_column
	.byte	11                              ; DW_FORM_data1
	.byte	0                               ; EOM(1)
	.byte	0                               ; EOM(2)
	.byte	5                               ; Abbreviation Code
	.byte	29                              ; DW_TAG_inlined_subroutine
	.byte	0                               ; DW_CHILDREN_no
	.byte	49                              ; DW_AT_abstract_origin
	.byte	19                              ; DW_FORM_ref4
	.byte	85                              ; DW_AT_ranges
	.byte	23                              ; DW_FORM_sec_offset
	.byte	88                              ; DW_AT_call_file
	.byte	11                              ; DW_FORM_data1
	.byte	89                              ; DW_AT_call_line
	.byte	11                              ; DW_FORM_data1
	.byte	87                              ; DW_AT_call_column
	.byte	11                              ; DW_FORM_data1
	.byte	0                               ; EOM(1)
	.byte	0                               ; EOM(2)
	.byte	6                               ; Abbreviation Code
	.byte	29                              ; DW_TAG_inlined_subroutine
	.byte	0                               ; DW_CHILDREN_no
	.byte	49                              ; DW_AT_abstract_origin
	.byte	19                              ; DW_FORM_ref4
	.byte	85                              ; DW_AT_ranges
	.byte	23                              ; DW_FORM_sec_offset
	.byte	88                              ; DW_AT_call_file
	.byte	11                              ; DW_FORM_data1
	.byte	89                              ; DW_AT_call_line
	.byte	5                               ; DW_FORM_data2
	.byte	87                              ; DW_AT_call_column
	.byte	11                              ; DW_FORM_data1
	.byte	0                               ; EOM(1)
	.byte	0                               ; EOM(2)
	;; [unrolled: 1-line block ×3, first 2 shown]
	.section	.debug_info,"",@progbits
.Lcu_begin0:
	.long	.Ldebug_info_end0-.Ldebug_info_start0 ; Length of Unit
.Ldebug_info_start0:
	.short	4                               ; DWARF version number
	.long	.debug_abbrev                   ; Offset Into Abbrev. Section
	.byte	8                               ; Address Size (in bytes)
	.byte	1                               ; Abbrev [1] 0xb:0x6b DW_TAG_compile_unit
	.long	.Linfo_string0                  ; DW_AT_producer
	.short	2                               ; DW_AT_language
	.long	.Linfo_string1                  ; DW_AT_name
	.long	.Lline_table_start0             ; DW_AT_stmt_list
	.long	.Linfo_string2                  ; DW_AT_comp_dir
	.quad	.Lfunc_begin0                   ; DW_AT_low_pc
	.long	.Lfunc_end0-.Lfunc_begin0       ; DW_AT_high_pc
	.byte	2                               ; Abbrev [2] 0x2a:0x6 DW_TAG_subprogram
	.long	.Linfo_string3                  ; DW_AT_name
	.byte	1                               ; DW_AT_inline
	.byte	3                               ; Abbrev [3] 0x30:0x45 DW_TAG_subprogram
	.quad	.Lfunc_begin0                   ; DW_AT_low_pc
	.long	.Lfunc_end0-.Lfunc_begin0       ; DW_AT_high_pc
	.long	42                              ; DW_AT_abstract_origin
	.byte	4                               ; Abbrev [4] 0x41:0x19 DW_TAG_inlined_subroutine
	.long	42                              ; DW_AT_abstract_origin
	.long	.Ldebug_ranges0                 ; DW_AT_ranges
	.byte	1                               ; DW_AT_call_file
	.byte	39                              ; DW_AT_call_line
	.byte	42                              ; DW_AT_call_column
	.byte	5                               ; Abbrev [5] 0x4d:0xc DW_TAG_inlined_subroutine
	.long	42                              ; DW_AT_abstract_origin
	.long	.Ldebug_ranges1                 ; DW_AT_ranges
	.byte	2                               ; DW_AT_call_file
	.byte	191                             ; DW_AT_call_line
	.byte	40                              ; DW_AT_call_column
	.byte	0                               ; End Of Children Mark
	.byte	4                               ; Abbrev [4] 0x5a:0x1a DW_TAG_inlined_subroutine
	.long	42                              ; DW_AT_abstract_origin
	.long	.Ldebug_ranges2                 ; DW_AT_ranges
	.byte	1                               ; DW_AT_call_file
	.byte	42                              ; DW_AT_call_line
	.byte	38                              ; DW_AT_call_column
	.byte	6                               ; Abbrev [6] 0x66:0xd DW_TAG_inlined_subroutine
	.long	42                              ; DW_AT_abstract_origin
	.long	.Ldebug_ranges3                 ; DW_AT_ranges
	.byte	2                               ; DW_AT_call_file
	.short	293                             ; DW_AT_call_line
	.byte	36                              ; DW_AT_call_column
	.byte	0                               ; End Of Children Mark
	.byte	0                               ; End Of Children Mark
	;; [unrolled: 1-line block ×3, first 2 shown]
.Ldebug_info_end0:
	.section	.debug_ranges,"",@progbits
.Ldebug_ranges0:
	.quad	.Ltmp1-.Lfunc_begin0
	.quad	.Ltmp2-.Lfunc_begin0
	;; [unrolled: 1-line block ×58, first 2 shown]
	.quad	0
	.quad	0
.Ldebug_ranges1:
	.quad	.Ltmp1-.Lfunc_begin0
	.quad	.Ltmp2-.Lfunc_begin0
	.quad	.Ltmp3-.Lfunc_begin0
	.quad	.Ltmp4-.Lfunc_begin0
	.quad	.Ltmp5-.Lfunc_begin0
	.quad	.Ltmp6-.Lfunc_begin0
	.quad	.Ltmp7-.Lfunc_begin0
	.quad	.Ltmp8-.Lfunc_begin0
	.quad	.Ltmp9-.Lfunc_begin0
	.quad	.Ltmp10-.Lfunc_begin0
	.quad	.Ltmp11-.Lfunc_begin0
	.quad	.Ltmp12-.Lfunc_begin0
	.quad	.Ltmp13-.Lfunc_begin0
	.quad	.Ltmp14-.Lfunc_begin0
	.quad	.Ltmp15-.Lfunc_begin0
	.quad	.Ltmp16-.Lfunc_begin0
	.quad	.Ltmp17-.Lfunc_begin0
	.quad	.Ltmp18-.Lfunc_begin0
	.quad	.Ltmp19-.Lfunc_begin0
	.quad	.Ltmp20-.Lfunc_begin0
	.quad	.Ltmp21-.Lfunc_begin0
	.quad	.Ltmp22-.Lfunc_begin0
	.quad	.Ltmp23-.Lfunc_begin0
	.quad	.Ltmp24-.Lfunc_begin0
	.quad	.Ltmp25-.Lfunc_begin0
	.quad	.Ltmp26-.Lfunc_begin0
	.quad	.Ltmp27-.Lfunc_begin0
	.quad	.Ltmp28-.Lfunc_begin0
	.quad	.Ltmp33-.Lfunc_begin0
	.quad	.Ltmp34-.Lfunc_begin0
	.quad	.Ltmp35-.Lfunc_begin0
	.quad	.Ltmp36-.Lfunc_begin0
	.quad	.Ltmp37-.Lfunc_begin0
	.quad	.Ltmp38-.Lfunc_begin0
	.quad	.Ltmp39-.Lfunc_begin0
	.quad	.Ltmp40-.Lfunc_begin0
	.quad	.Ltmp41-.Lfunc_begin0
	.quad	.Ltmp42-.Lfunc_begin0
	.quad	.Ltmp43-.Lfunc_begin0
	.quad	.Ltmp44-.Lfunc_begin0
	.quad	.Ltmp45-.Lfunc_begin0
	.quad	.Ltmp46-.Lfunc_begin0
	.quad	.Ltmp47-.Lfunc_begin0
	.quad	.Ltmp48-.Lfunc_begin0
	.quad	.Ltmp49-.Lfunc_begin0
	.quad	.Ltmp50-.Lfunc_begin0
	.quad	.Ltmp51-.Lfunc_begin0
	.quad	.Ltmp52-.Lfunc_begin0
	.quad	.Ltmp53-.Lfunc_begin0
	.quad	.Ltmp54-.Lfunc_begin0
	.quad	.Ltmp55-.Lfunc_begin0
	.quad	.Ltmp56-.Lfunc_begin0
	.quad	.Ltmp57-.Lfunc_begin0
	.quad	.Ltmp58-.Lfunc_begin0
	.quad	.Ltmp59-.Lfunc_begin0
	.quad	.Ltmp60-.Lfunc_begin0
	.quad	.Ltmp61-.Lfunc_begin0
	.quad	.Ltmp62-.Lfunc_begin0
	.quad	0
	.quad	0
.Ldebug_ranges2:
	.quad	.Ltmp30-.Lfunc_begin0
	.quad	.Ltmp32-.Lfunc_begin0
	;; [unrolled: 1-line block ×38, first 2 shown]
	.quad	0
	.quad	0
.Ldebug_ranges3:
	.quad	.Ltmp30-.Lfunc_begin0
	.quad	.Ltmp31-.Lfunc_begin0
	;; [unrolled: 1-line block ×38, first 2 shown]
	.quad	0
	.quad	0
	.section	.debug_str,"MS",@progbits,1
.Linfo_string0:
	.asciz	"triton"                        ; string offset=0
.Linfo_string1:
	.asciz	"attention_fwd.py"              ; string offset=7
.Linfo_string2:
	.asciz	"/root/src/amdgpu-assembly/repos/triton-lang__triton-aot" ; string offset=24
.Linfo_string3:
	.asciz	"attention_fwd_kernel"          ; string offset=80
	.section	".note.GNU-stack","",@progbits
	.amdgpu_metadata
---
amdhsa.kernels:
  - .args:
      - .address_space:  global
        .offset:         0
        .size:           8
        .value_kind:     global_buffer
      - .address_space:  global
        .offset:         8
        .size:           8
        .value_kind:     global_buffer
      - .address_space:  global
        .offset:         16
        .size:           8
        .value_kind:     global_buffer
      - .address_space:  global
        .offset:         24
        .size:           8
        .value_kind:     global_buffer
      - .offset:         32
        .size:           4
        .value_kind:     by_value
      - .offset:         36
        .size:           4
        .value_kind:     by_value
      - .offset:         40
        .size:           4
        .value_kind:     by_value
      - .offset:         44
        .size:           4
        .value_kind:     by_value
      - .offset:         48
        .size:           4
        .value_kind:     by_value
      - .offset:         52
        .size:           4
        .value_kind:     by_value
      - .offset:         56
        .size:           4
        .value_kind:     by_value
      - .offset:         60
        .size:           4
        .value_kind:     by_value
      - .offset:         64
        .size:           4
        .value_kind:     by_value
      - .offset:         68
        .size:           4
        .value_kind:     by_value
      - .address_space:  global
        .offset:         72
        .size:           8
        .value_kind:     global_buffer
      - .address_space:  global
        .offset:         80
        .size:           8
        .value_kind:     global_buffer
    .group_segment_fixed_size: 0
    .kernarg_segment_align: 8
    .kernarg_segment_size: 88
    .max_flat_workgroup_size: 128
    .name:           attention_fwd_kernel
    .private_segment_fixed_size: 0
    .sgpr_count:     107
    .sgpr_spill_count: 38
    .symbol:         attention_fwd_kernel.kd
    .uniform_work_group_size: 1
    .uses_dynamic_stack: false
    .vgpr_count:     231
    .vgpr_spill_count: 0
    .wavefront_size: 32
    .workgroup_processor_mode: 1
amdhsa.target:   amdgcn-amd-amdhsa--gfx1201
amdhsa.version:
  - 1
  - 2
...

	.end_amdgpu_metadata
	.section	.debug_line,"",@progbits
.Lline_table_start0:
